;; amdgpu-corpus repo=ROCm/rocFFT kind=compiled arch=gfx950 opt=O3
	.text
	.amdgcn_target "amdgcn-amd-amdhsa--gfx950"
	.amdhsa_code_object_version 6
	.protected	bluestein_single_back_len1911_dim1_dp_op_CI_CI ; -- Begin function bluestein_single_back_len1911_dim1_dp_op_CI_CI
	.globl	bluestein_single_back_len1911_dim1_dp_op_CI_CI
	.p2align	8
	.type	bluestein_single_back_len1911_dim1_dp_op_CI_CI,@function
bluestein_single_back_len1911_dim1_dp_op_CI_CI: ; @bluestein_single_back_len1911_dim1_dp_op_CI_CI
; %bb.0:
	s_load_dwordx4 s[4:7], s[0:1], 0x28
	v_mul_u32_u24_e32 v1, 0x2d1, v0
	v_mov_b32_e32 v107, 0
	v_add_u32_sdwa v6, s2, v1 dst_sel:DWORD dst_unused:UNUSED_PAD src0_sel:DWORD src1_sel:WORD_1
	v_mov_b32_e32 v7, v107
	s_waitcnt lgkmcnt(0)
	v_cmp_gt_u64_e32 vcc, s[4:5], v[6:7]
	s_and_saveexec_b64 s[2:3], vcc
	s_cbranch_execz .LBB0_15
; %bb.1:
	s_load_dwordx4 s[12:15], s[0:1], 0x18
	s_load_dwordx2 s[16:17], s[0:1], 0x0
	s_movk_i32 s2, 0x5b
	v_mul_lo_u16_sdwa v1, v1, s2 dst_sel:DWORD dst_unused:UNUSED_PAD src0_sel:WORD_1 src1_sel:DWORD
	v_sub_u16_e32 v106, v0, v1
	s_waitcnt lgkmcnt(0)
	s_load_dwordx4 s[8:11], s[12:13], 0x0
	v_accvgpr_write_b32 a2, v6
	v_mov_b32_e32 v2, s6
	v_mov_b32_e32 v3, s7
	v_lshlrev_b32_e32 v108, 4, v106
	s_waitcnt lgkmcnt(0)
	v_mad_u64_u32 v[0:1], s[2:3], s10, v6, 0
	v_mov_b32_e32 v4, v1
	v_mad_u64_u32 v[4:5], s[2:3], s11, v6, v[4:5]
	v_mov_b32_e32 v1, v4
	v_mad_u64_u32 v[4:5], s[2:3], s8, v106, 0
	v_mov_b32_e32 v6, v5
	v_mad_u64_u32 v[6:7], s[2:3], s9, v106, v[6:7]
	s_mul_i32 s2, s9, 0x93
	s_mul_hi_u32 s3, s8, 0x93
	v_mov_b32_e32 v5, v6
	v_lshl_add_u64 v[0:1], v[0:1], 4, v[2:3]
	s_add_i32 s3, s3, s2
	s_mul_i32 s2, s8, 0x93
	v_lshl_add_u64 v[8:9], v[4:5], 4, v[0:1]
	s_lshl_b64 s[12:13], s[2:3], 4
	v_mov_b32_e32 v109, v107
	v_lshl_add_u64 v[10:11], v[8:9], 0, s[12:13]
	global_load_dwordx4 v[4:7], v[8:9], off
	global_load_dwordx4 v[0:3], v[10:11], off
	global_load_dwordx4 v[102:105], v108, s[16:17]
	global_load_dwordx4 v[74:77], v108, s[16:17] offset:2352
	v_lshl_add_u64 v[26:27], s[16:17], 0, v[108:109]
	s_movk_i32 s2, 0x1000
	v_lshl_add_u64 v[12:13], v[10:11], 0, s[12:13]
	v_add_co_u32_e32 v28, vcc, s2, v26
	global_load_dwordx4 v[8:11], v[12:13], off
	s_nop 0
	v_addc_co_u32_e32 v29, vcc, 0, v27, vcc
	global_load_dwordx4 v[94:97], v[28:29], off offset:608
	global_load_dwordx4 v[82:85], v[28:29], off offset:2960
	v_lshl_add_u64 v[16:17], v[12:13], 0, s[12:13]
	v_lshl_add_u64 v[22:23], v[16:17], 0, s[12:13]
	global_load_dwordx4 v[18:21], v[16:17], off
	global_load_dwordx4 v[12:15], v[22:23], off
	s_movk_i32 s2, 0x2000
	v_add_co_u32_e32 v32, vcc, s2, v26
	v_lshl_add_u64 v[16:17], v[22:23], 0, s[12:13]
	s_nop 0
	v_addc_co_u32_e32 v33, vcc, 0, v27, vcc
	global_load_dwordx4 v[22:25], v[16:17], off
	global_load_dwordx4 v[116:119], v[32:33], off offset:1216
	global_load_dwordx4 v[86:89], v[32:33], off offset:3568
	s_movk_i32 s2, 0x3000
	v_add_co_u32_e32 v34, vcc, s2, v26
	v_lshl_add_u64 v[16:17], v[16:17], 0, s[12:13]
	s_nop 0
	v_addc_co_u32_e32 v35, vcc, 0, v27, vcc
	global_load_dwordx4 v[42:45], v[16:17], off
	global_load_dwordx4 v[78:81], v[34:35], off offset:1824
	v_lshl_add_u64 v[16:17], v[16:17], 0, s[12:13]
	s_movk_i32 s2, 0x4000
	global_load_dwordx4 v[46:49], v[16:17], off
	v_add_co_u32_e32 v36, vcc, s2, v26
	v_lshl_add_u64 v[16:17], v[16:17], 0, s[12:13]
	s_nop 0
	v_addc_co_u32_e32 v37, vcc, 0, v27, vcc
	global_load_dwordx4 v[50:53], v[16:17], off
	global_load_dwordx4 v[124:127], v[36:37], off offset:80
	global_load_dwordx4 v[90:93], v[36:37], off offset:2432
	v_lshl_add_u64 v[16:17], v[16:17], 0, s[12:13]
	s_movk_i32 s2, 0x5000
	global_load_dwordx4 v[54:57], v[16:17], off
	v_add_co_u32_e32 v38, vcc, s2, v26
	s_movk_i32 s2, 0x6000
	s_nop 0
	v_addc_co_u32_e32 v39, vcc, 0, v27, vcc
	v_lshl_add_u64 v[16:17], v[16:17], 0, s[12:13]
	global_load_dwordx4 v[128:131], v[38:39], off offset:688
	global_load_dwordx4 v[58:61], v[16:17], off
	global_load_dwordx4 v[98:101], v[38:39], off offset:3040
	v_add_co_u32_e32 v40, vcc, s2, v26
	v_lshl_add_u64 v[16:17], v[16:17], 0, s[12:13]
	s_nop 0
	v_addc_co_u32_e32 v41, vcc, 0, v27, vcc
	global_load_dwordx4 v[62:65], v[16:17], off
	global_load_dwordx4 v[112:115], v[40:41], off offset:1296
	v_lshl_add_u64 v[16:17], v[16:17], 0, s[12:13]
	global_load_dwordx4 v[66:69], v[16:17], off
	global_load_dwordx4 v[120:123], v[40:41], off offset:3648
	s_load_dwordx2 s[10:11], s[0:1], 0x38
	s_load_dwordx4 s[4:7], s[14:15], 0x0
	v_accvgpr_write_b32 a77, v27
	v_accvgpr_write_b32 a76, v26
	v_cmp_gt_u16_e32 vcc, 56, v106
	s_waitcnt vmcnt(23)
	v_mul_f64 v[70:71], v[6:7], v[104:105]
	v_fmac_f64_e32 v[70:71], v[4:5], v[102:103]
	v_mul_f64 v[4:5], v[4:5], v[104:105]
	v_fma_f64 v[72:73], v[6:7], v[102:103], -v[4:5]
	s_waitcnt vmcnt(22)
	v_mul_f64 v[4:5], v[2:3], v[76:77]
	v_fmac_f64_e32 v[4:5], v[0:1], v[74:75]
	v_mul_f64 v[0:1], v[0:1], v[76:77]
	v_fma_f64 v[6:7], v[2:3], v[74:75], -v[0:1]
	v_accvgpr_write_b32 a32, v102
	s_waitcnt vmcnt(20)
	v_mul_f64 v[0:1], v[10:11], v[96:97]
	v_mul_f64 v[2:3], v[8:9], v[96:97]
	v_fmac_f64_e32 v[0:1], v[8:9], v[94:95]
	v_fma_f64 v[2:3], v[10:11], v[94:95], -v[2:3]
	ds_write_b128 v108, v[0:3] offset:4704
	s_waitcnt vmcnt(18)
	v_mul_f64 v[0:1], v[20:21], v[84:85]
	v_mul_f64 v[2:3], v[18:19], v[84:85]
	v_fmac_f64_e32 v[0:1], v[18:19], v[82:83]
	v_fma_f64 v[2:3], v[20:21], v[82:83], -v[2:3]
	ds_write_b128 v108, v[0:3] offset:7056
	;; [unrolled: 6-line block ×5, first 2 shown]
	v_accvgpr_write_b32 a4, v74
	v_accvgpr_write_b32 a24, v94
	s_waitcnt vmcnt(9)
	v_mul_f64 v[0:1], v[48:49], v[126:127]
	v_mul_f64 v[2:3], v[46:47], v[126:127]
	v_fmac_f64_e32 v[0:1], v[46:47], v[124:125]
	v_fma_f64 v[2:3], v[48:49], v[124:125], -v[2:3]
	ds_write_b128 v108, v[0:3] offset:16464
	s_waitcnt vmcnt(8)
	v_mul_f64 v[0:1], v[52:53], v[92:93]
	v_mul_f64 v[2:3], v[50:51], v[92:93]
	v_fmac_f64_e32 v[0:1], v[50:51], v[90:91]
	v_fma_f64 v[2:3], v[52:53], v[90:91], -v[2:3]
	ds_write_b128 v108, v[0:3] offset:18816
	;; [unrolled: 6-line block ×4, first 2 shown]
	s_waitcnt vmcnt(2)
	v_mul_f64 v[0:1], v[64:65], v[114:115]
	v_mul_f64 v[2:3], v[62:63], v[114:115]
	v_fmac_f64_e32 v[0:1], v[62:63], v[112:113]
	v_fma_f64 v[2:3], v[64:65], v[112:113], -v[2:3]
	v_accvgpr_write_b32 a12, v82
	v_accvgpr_write_b32 a40, v116
	;; [unrolled: 1-line block ×9, first 2 shown]
	ds_write_b128 v108, v[0:3] offset:25872
	s_waitcnt vmcnt(0)
	v_mul_f64 v[0:1], v[68:69], v[122:123]
	v_mul_f64 v[2:3], v[66:67], v[122:123]
	v_accvgpr_write_b32 a44, v120
	v_accvgpr_write_b32 a33, v103
	;; [unrolled: 1-line block ×37, first 2 shown]
	v_fmac_f64_e32 v[0:1], v[66:67], v[120:121]
	v_accvgpr_write_b32 a45, v121
	v_accvgpr_write_b32 a46, v122
	;; [unrolled: 1-line block ×3, first 2 shown]
	v_fma_f64 v[2:3], v[68:69], v[120:121], -v[2:3]
	ds_write_b128 v108, v[70:73]
	ds_write_b128 v108, v[4:7] offset:2352
	ds_write_b128 v108, v[0:3] offset:28224
	s_and_saveexec_b64 s[14:15], vcc
	s_cbranch_execz .LBB0_3
; %bb.2:
	v_mov_b32_e32 v0, 0xffff9770
	v_mad_u64_u32 v[8:9], s[2:3], s8, v0, v[16:17]
	s_mul_i32 s2, s9, 0xffff9770
	s_sub_i32 s2, s2, s8
	v_accvgpr_read_b32 v99, a77
	v_add_u32_e32 v9, s2, v9
	v_accvgpr_read_b32 v98, a76
	global_load_dwordx4 v[0:3], v[8:9], off
	global_load_dwordx4 v[4:7], v[98:99], off offset:1456
	v_lshl_add_u64 v[16:17], v[8:9], 0, s[12:13]
	global_load_dwordx4 v[8:11], v[16:17], off
	global_load_dwordx4 v[12:15], v[98:99], off offset:3808
	v_lshl_add_u64 v[30:31], v[16:17], 0, s[12:13]
	v_lshl_add_u64 v[42:43], v[30:31], 0, s[12:13]
	global_load_dwordx4 v[16:19], v[30:31], off
	global_load_dwordx4 v[20:23], v[28:29], off offset:2064
	global_load_dwordx4 v[24:27], v[32:33], off offset:320
	v_lshl_add_u64 v[54:55], v[42:43], 0, s[12:13]
	global_load_dwordx4 v[28:31], v[42:43], off
	s_nop 0
	global_load_dwordx4 v[42:45], v[54:55], off
	global_load_dwordx4 v[46:49], v[32:33], off offset:2672
	global_load_dwordx4 v[50:53], v[34:35], off offset:928
	v_lshl_add_u64 v[32:33], v[54:55], 0, s[12:13]
	global_load_dwordx4 v[54:57], v[32:33], off
	v_lshl_add_u64 v[32:33], v[32:33], 0, s[12:13]
	v_lshl_add_u64 v[70:71], v[32:33], 0, s[12:13]
	global_load_dwordx4 v[58:61], v[32:33], off
	global_load_dwordx4 v[62:65], v[34:35], off offset:3280
	global_load_dwordx4 v[66:69], v[36:37], off offset:1536
	v_lshl_add_u64 v[78:79], v[70:71], 0, s[12:13]
	global_load_dwordx4 v[32:35], v[70:71], off
	s_nop 0
	global_load_dwordx4 v[70:73], v[78:79], off
	global_load_dwordx4 v[74:77], v[36:37], off offset:3888
	s_nop 0
	global_load_dwordx4 v[36:39], v[38:39], off offset:2144
	v_lshl_add_u64 v[90:91], v[78:79], 0, s[12:13]
	global_load_dwordx4 v[78:81], v[90:91], off
	global_load_dwordx4 v[82:85], v[40:41], off offset:400
	global_load_dwordx4 v[86:89], v[40:41], off offset:2752
	v_lshl_add_u64 v[40:41], v[90:91], 0, s[12:13]
	global_load_dwordx4 v[90:93], v[40:41], off
	s_movk_i32 s2, 0x7000
	v_lshl_add_u64 v[40:41], v[40:41], 0, s[12:13]
	global_load_dwordx4 v[94:97], v[40:41], off
	v_add_co_u32_e64 v98, s[2:3], s2, v98
	v_lshl_add_u64 v[40:41], v[40:41], 0, s[12:13]
	s_nop 0
	v_addc_co_u32_e64 v99, s[2:3], 0, v99, s[2:3]
	global_load_dwordx4 v[98:101], v[98:99], off offset:1008
	s_waitcnt vmcnt(23)
	v_mul_f64 v[112:113], v[2:3], v[6:7]
	global_load_dwordx4 v[102:105], v[40:41], off
	v_mul_f64 v[6:7], v[0:1], v[6:7]
	v_fmac_f64_e32 v[112:113], v[0:1], v[4:5]
	v_fma_f64 v[114:115], v[2:3], v[4:5], -v[6:7]
	s_waitcnt vmcnt(22)
	v_mul_f64 v[0:1], v[10:11], v[14:15]
	v_mul_f64 v[2:3], v[8:9], v[14:15]
	v_fmac_f64_e32 v[0:1], v[8:9], v[12:13]
	v_fma_f64 v[2:3], v[10:11], v[12:13], -v[2:3]
	ds_write_b128 v108, v[0:3] offset:3808
	s_waitcnt vmcnt(18)
	v_mul_f64 v[0:1], v[30:31], v[26:27]
	v_mul_f64 v[2:3], v[28:29], v[26:27]
	v_fmac_f64_e32 v[0:1], v[28:29], v[24:25]
	v_fma_f64 v[2:3], v[30:31], v[24:25], -v[2:3]
	ds_write_b128 v108, v[0:3] offset:8512
	;; [unrolled: 6-line block ×3, first 2 shown]
	s_waitcnt vmcnt(10)
	v_mul_f64 v[0:1], v[34:35], v[68:69]
	v_mul_f64 v[2:3], v[32:33], v[68:69]
	v_fmac_f64_e32 v[0:1], v[32:33], v[66:67]
	v_fma_f64 v[2:3], v[34:35], v[66:67], -v[2:3]
	v_mul_f64 v[4:5], v[18:19], v[22:23]
	v_mul_f64 v[6:7], v[16:17], v[22:23]
	ds_write_b128 v108, v[0:3] offset:17920
	s_waitcnt vmcnt(6)
	v_mul_f64 v[0:1], v[80:81], v[38:39]
	v_mul_f64 v[2:3], v[78:79], v[38:39]
	v_fmac_f64_e32 v[4:5], v[16:17], v[20:21]
	v_fma_f64 v[6:7], v[18:19], v[20:21], -v[6:7]
	v_fmac_f64_e32 v[0:1], v[78:79], v[36:37]
	v_fma_f64 v[2:3], v[80:81], v[36:37], -v[2:3]
	ds_write_b128 v108, v[4:7] offset:6160
	v_mul_f64 v[4:5], v[44:45], v[48:49]
	v_mul_f64 v[6:7], v[42:43], v[48:49]
	ds_write_b128 v108, v[0:3] offset:22624
	s_waitcnt vmcnt(3)
	v_mul_f64 v[0:1], v[92:93], v[84:85]
	v_mul_f64 v[2:3], v[90:91], v[84:85]
	v_fmac_f64_e32 v[4:5], v[42:43], v[46:47]
	v_fma_f64 v[6:7], v[44:45], v[46:47], -v[6:7]
	v_fmac_f64_e32 v[0:1], v[90:91], v[82:83]
	v_fma_f64 v[2:3], v[92:93], v[82:83], -v[2:3]
	ds_write_b128 v108, v[4:7] offset:10864
	;; [unrolled: 11-line block ×3, first 2 shown]
	v_mul_f64 v[4:5], v[72:73], v[76:77]
	v_mul_f64 v[6:7], v[70:71], v[76:77]
	ds_write_b128 v108, v[0:3] offset:27328
	v_fmac_f64_e32 v[4:5], v[70:71], v[74:75]
	v_fma_f64 v[6:7], v[72:73], v[74:75], -v[6:7]
	ds_write_b128 v108, v[112:115] offset:1456
	ds_write_b128 v108, v[4:7] offset:20272
	s_waitcnt vmcnt(0)
	v_mul_f64 v[0:1], v[104:105], v[100:101]
	v_mul_f64 v[2:3], v[102:103], v[100:101]
	v_fmac_f64_e32 v[0:1], v[102:103], v[98:99]
	v_fma_f64 v[2:3], v[104:105], v[98:99], -v[2:3]
	ds_write_b128 v108, v[0:3] offset:29680
.LBB0_3:
	s_or_b64 exec, exec, s[14:15]
	v_accvgpr_write_b32 a0, v106
	v_accvgpr_write_b32 a1, v107
	s_waitcnt lgkmcnt(0)
	s_barrier
	ds_read_b128 v[60:63], v108
	ds_read_b128 v[68:71], v108 offset:2352
	ds_read_b128 v[48:51], v108 offset:4704
	;; [unrolled: 1-line block ×12, first 2 shown]
	s_load_dwordx2 s[2:3], s[0:1], 0x8
                                        ; implicit-def: $vgpr0_vgpr1
                                        ; implicit-def: $vgpr4_vgpr5
                                        ; implicit-def: $vgpr8_vgpr9
                                        ; implicit-def: $vgpr12_vgpr13
                                        ; implicit-def: $vgpr16_vgpr17
                                        ; implicit-def: $vgpr20_vgpr21
                                        ; implicit-def: $vgpr72_vgpr73
                                        ; implicit-def: $vgpr76_vgpr77
                                        ; implicit-def: $vgpr80_vgpr81
                                        ; implicit-def: $vgpr84_vgpr85
                                        ; implicit-def: $vgpr88_vgpr89
                                        ; implicit-def: $vgpr92_vgpr93
                                        ; implicit-def: $vgpr96_vgpr97
	s_and_saveexec_b64 s[0:1], vcc
	s_cbranch_execz .LBB0_5
; %bb.4:
	ds_read_b128 v[0:3], v108 offset:1456
	ds_read_b128 v[4:7], v108 offset:3808
	ds_read_b128 v[8:11], v108 offset:6160
	ds_read_b128 v[12:15], v108 offset:8512
	ds_read_b128 v[16:19], v108 offset:10864
	ds_read_b128 v[20:23], v108 offset:13216
	ds_read_b128 v[72:75], v108 offset:15568
	ds_read_b128 v[76:79], v108 offset:17920
	ds_read_b128 v[80:83], v108 offset:20272
	ds_read_b128 v[84:87], v108 offset:22624
	ds_read_b128 v[88:91], v108 offset:24976
	ds_read_b128 v[92:95], v108 offset:27328
	ds_read_b128 v[96:99], v108 offset:29680
.LBB0_5:
	s_or_b64 exec, exec, s[0:1]
	s_waitcnt lgkmcnt(0)
	v_add_f64 v[100:101], v[60:61], v[68:69]
	v_add_f64 v[102:103], v[62:63], v[70:71]
	;; [unrolled: 1-line block ×19, first 2 shown]
	s_mov_b32 s34, 0x4267c47c
	s_mov_b32 s26, 0x42a4c3d2
	s_mov_b32 s22, 0x66966769
	s_mov_b32 s24, 0x2ef20147
	s_mov_b32 s28, 0x24c2f84
	s_mov_b32 s30, 0x4bc48dbf
	v_add_f64 v[102:103], v[102:103], v[46:47]
	v_add_f64 v[100:101], v[100:101], v[64:65]
	;; [unrolled: 1-line block ×3, first 2 shown]
	v_add_f64 v[70:71], v[70:71], -v[106:107]
	s_mov_b32 s35, 0xbfddbe06
	s_mov_b32 s0, 0xe00740e9
	;; [unrolled: 1-line block ×12, first 2 shown]
	v_add_f64 v[102:103], v[102:103], v[66:67]
	v_add_f64 v[100:101], v[100:101], v[104:105]
	;; [unrolled: 1-line block ×3, first 2 shown]
	v_add_f64 v[68:69], v[68:69], -v[104:105]
	v_mul_f64 v[104:105], v[70:71], s[34:35]
	s_mov_b32 s1, 0x3fec55a7
	v_mul_f64 v[120:121], v[70:71], s[26:27]
	s_mov_b32 s9, 0x3fe22d96
	;; [unrolled: 2-line block ×6, first 2 shown]
	v_add_f64 v[102:103], v[102:103], v[106:107]
	v_fma_f64 v[106:107], v[112:113], s[0:1], -v[104:105]
	v_mul_f64 v[116:117], v[68:69], s[34:35]
	v_fmac_f64_e32 v[104:105], s[0:1], v[112:113]
	v_fma_f64 v[122:123], v[112:113], s[8:9], -v[120:121]
	v_mul_f64 v[124:125], v[68:69], s[26:27]
	v_fmac_f64_e32 v[120:121], s[8:9], v[112:113]
	;; [unrolled: 3-line block ×6, first 2 shown]
	v_add_f64 v[106:107], v[60:61], v[106:107]
	v_fma_f64 v[118:119], s[0:1], v[114:115], v[116:117]
	v_add_f64 v[104:105], v[60:61], v[104:105]
	v_fma_f64 v[116:117], v[114:115], s[0:1], -v[116:117]
	v_add_f64 v[122:123], v[60:61], v[122:123]
	v_fma_f64 v[126:127], s[8:9], v[114:115], v[124:125]
	v_add_f64 v[120:121], v[60:61], v[120:121]
	v_fma_f64 v[124:125], v[114:115], s[8:9], -v[124:125]
	;; [unrolled: 4-line block ×6, first 2 shown]
	v_add_f64 v[70:71], v[50:51], v[66:67]
	v_add_f64 v[50:51], v[50:51], -v[66:67]
	v_add_f64 v[118:119], v[62:63], v[118:119]
	v_add_f64 v[116:117], v[62:63], v[116:117]
	;; [unrolled: 1-line block ×13, first 2 shown]
	v_add_f64 v[48:49], v[48:49], -v[64:65]
	v_mul_f64 v[64:65], v[50:51], s[26:27]
	v_fma_f64 v[66:67], v[68:69], s[8:9], -v[64:65]
	v_add_f64 v[66:67], v[66:67], v[106:107]
	v_mul_f64 v[106:107], v[48:49], s[26:27]
	v_fmac_f64_e32 v[64:65], s[8:9], v[68:69]
	v_fma_f64 v[112:113], s[8:9], v[70:71], v[106:107]
	v_add_f64 v[64:65], v[64:65], v[104:105]
	v_fma_f64 v[104:105], v[70:71], s[8:9], -v[106:107]
	v_mul_f64 v[106:107], v[50:51], s[24:25]
	v_add_f64 v[104:105], v[104:105], v[116:117]
	v_fma_f64 v[114:115], v[68:69], s[20:21], -v[106:107]
	v_mul_f64 v[116:117], v[48:49], s[24:25]
	v_fmac_f64_e32 v[106:107], s[20:21], v[68:69]
	v_add_f64 v[112:113], v[112:113], v[118:119]
	v_fma_f64 v[118:119], s[20:21], v[70:71], v[116:117]
	v_add_f64 v[106:107], v[106:107], v[120:121]
	v_fma_f64 v[116:117], v[70:71], s[20:21], -v[116:117]
	v_mul_f64 v[120:121], v[50:51], s[30:31]
	v_add_f64 v[114:115], v[114:115], v[122:123]
	v_add_f64 v[116:117], v[116:117], v[124:125]
	v_fma_f64 v[122:123], v[68:69], s[18:19], -v[120:121]
	v_mul_f64 v[124:125], v[48:49], s[30:31]
	v_fmac_f64_e32 v[120:121], s[18:19], v[68:69]
	s_mov_b32 s41, 0x3fe5384d
	s_mov_b32 s40, s28
	v_add_f64 v[118:119], v[118:119], v[126:127]
	v_fma_f64 v[126:127], s[18:19], v[70:71], v[124:125]
	v_add_f64 v[120:121], v[120:121], v[128:129]
	v_fma_f64 v[124:125], v[70:71], s[18:19], -v[124:125]
	v_mul_f64 v[128:129], v[50:51], s[40:41]
	v_add_f64 v[122:123], v[122:123], v[130:131]
	v_add_f64 v[124:125], v[124:125], v[132:133]
	v_fma_f64 v[130:131], v[68:69], s[14:15], -v[128:129]
	v_mul_f64 v[132:133], v[48:49], s[40:41]
	v_fmac_f64_e32 v[128:129], s[14:15], v[68:69]
	s_mov_b32 s37, 0x3fefc445
	s_mov_b32 s36, s22
	v_add_f64 v[126:127], v[126:127], v[134:135]
	v_fma_f64 v[134:135], s[14:15], v[70:71], v[132:133]
	v_add_f64 v[128:129], v[128:129], v[136:137]
	v_fma_f64 v[132:133], v[70:71], s[14:15], -v[132:133]
	v_mul_f64 v[136:137], v[50:51], s[36:37]
	s_mov_b32 s39, 0x3fddbe06
	s_mov_b32 s38, s34
	v_add_f64 v[130:131], v[130:131], v[138:139]
	v_add_f64 v[132:133], v[132:133], v[140:141]
	v_fma_f64 v[138:139], v[68:69], s[12:13], -v[136:137]
	v_mul_f64 v[140:141], v[48:49], s[36:37]
	v_mul_f64 v[48:49], v[48:49], s[38:39]
	v_add_f64 v[138:139], v[138:139], v[146:147]
	v_fmac_f64_e32 v[136:137], s[12:13], v[68:69]
	v_mul_f64 v[50:51], v[50:51], s[38:39]
	v_fma_f64 v[146:147], s[0:1], v[70:71], v[48:49]
	v_fma_f64 v[48:49], v[70:71], s[0:1], -v[48:49]
	v_add_f64 v[136:137], v[136:137], v[144:145]
	v_fma_f64 v[144:145], v[68:69], s[0:1], -v[50:51]
	v_fmac_f64_e32 v[50:51], s[0:1], v[68:69]
	v_add_f64 v[48:49], v[48:49], v[62:63]
	v_add_f64 v[62:63], v[42:43], v[46:47]
	v_add_f64 v[42:43], v[42:43], -v[46:47]
	v_add_f64 v[50:51], v[50:51], v[60:61]
	v_add_f64 v[60:61], v[40:41], v[44:45]
	v_add_f64 v[40:41], v[40:41], -v[44:45]
	v_mul_f64 v[44:45], v[42:43], s[22:23]
	v_fma_f64 v[46:47], v[60:61], s[12:13], -v[44:45]
	v_add_f64 v[46:47], v[46:47], v[66:67]
	v_mul_f64 v[66:67], v[40:41], s[22:23]
	v_fmac_f64_e32 v[44:45], s[12:13], v[60:61]
	v_fma_f64 v[68:69], s[12:13], v[62:63], v[66:67]
	v_add_f64 v[44:45], v[44:45], v[64:65]
	v_fma_f64 v[64:65], v[62:63], s[12:13], -v[66:67]
	v_mul_f64 v[66:67], v[42:43], s[30:31]
	v_add_f64 v[134:135], v[134:135], v[142:143]
	v_fma_f64 v[142:143], s[12:13], v[70:71], v[140:141]
	v_fma_f64 v[140:141], v[70:71], s[12:13], -v[140:141]
	v_fma_f64 v[70:71], v[60:61], s[18:19], -v[66:67]
	v_fmac_f64_e32 v[66:67], s[18:19], v[60:61]
	s_mov_b32 s43, 0x3fedeba7
	s_mov_b32 s42, s24
	v_add_f64 v[64:65], v[64:65], v[104:105]
	v_mul_f64 v[104:105], v[40:41], s[30:31]
	v_add_f64 v[66:67], v[66:67], v[106:107]
	v_mul_f64 v[106:107], v[42:43], s[42:43]
	v_add_f64 v[68:69], v[68:69], v[112:113]
	v_add_f64 v[70:71], v[70:71], v[114:115]
	v_fma_f64 v[112:113], s[18:19], v[62:63], v[104:105]
	v_fma_f64 v[104:105], v[62:63], s[18:19], -v[104:105]
	v_fma_f64 v[114:115], v[60:61], s[20:21], -v[106:107]
	v_fmac_f64_e32 v[106:107], s[20:21], v[60:61]
	v_add_f64 v[104:105], v[104:105], v[116:117]
	v_mul_f64 v[116:117], v[40:41], s[42:43]
	v_add_f64 v[106:107], v[106:107], v[120:121]
	v_mul_f64 v[120:121], v[42:43], s[38:39]
	v_add_f64 v[112:113], v[112:113], v[118:119]
	v_add_f64 v[114:115], v[114:115], v[122:123]
	v_fma_f64 v[118:119], s[20:21], v[62:63], v[116:117]
	v_fma_f64 v[116:117], v[62:63], s[20:21], -v[116:117]
	v_fma_f64 v[122:123], v[60:61], s[0:1], -v[120:121]
	v_fmac_f64_e32 v[120:121], s[0:1], v[60:61]
	;; [unrolled: 10-line block ×3, first 2 shown]
	v_mul_f64 v[42:43], v[42:43], s[28:29]
	v_add_f64 v[124:125], v[124:125], v[132:133]
	v_mul_f64 v[132:133], v[40:41], s[26:27]
	v_add_f64 v[128:129], v[128:129], v[136:137]
	v_fma_f64 v[136:137], v[60:61], s[14:15], -v[42:43]
	v_mul_f64 v[40:41], v[40:41], s[28:29]
	v_fmac_f64_e32 v[42:43], s[14:15], v[60:61]
	v_add_f64 v[130:131], v[130:131], v[138:139]
	v_fma_f64 v[138:139], s[14:15], v[62:63], v[40:41]
	v_add_f64 v[42:43], v[42:43], v[50:51]
	v_fma_f64 v[40:41], v[62:63], s[14:15], -v[40:41]
	v_add_f64 v[50:51], v[34:35], v[38:39]
	v_add_f64 v[34:35], v[34:35], -v[38:39]
	v_add_f64 v[40:41], v[40:41], v[48:49]
	v_add_f64 v[48:49], v[32:33], v[36:37]
	v_add_f64 v[32:33], v[32:33], -v[36:37]
	v_mul_f64 v[36:37], v[34:35], s[24:25]
	v_fma_f64 v[38:39], v[48:49], s[20:21], -v[36:37]
	v_add_f64 v[38:39], v[38:39], v[46:47]
	v_mul_f64 v[46:47], v[32:33], s[24:25]
	v_fmac_f64_e32 v[36:37], s[20:21], v[48:49]
	v_fma_f64 v[60:61], s[20:21], v[50:51], v[46:47]
	v_add_f64 v[36:37], v[36:37], v[44:45]
	v_fma_f64 v[44:45], v[50:51], s[20:21], -v[46:47]
	v_mul_f64 v[46:47], v[34:35], s[40:41]
	v_add_f64 v[126:127], v[126:127], v[134:135]
	v_fma_f64 v[134:135], s[8:9], v[62:63], v[132:133]
	v_fma_f64 v[132:133], v[62:63], s[8:9], -v[132:133]
	v_fma_f64 v[62:63], v[48:49], s[14:15], -v[46:47]
	v_fmac_f64_e32 v[46:47], s[14:15], v[48:49]
	v_add_f64 v[44:45], v[44:45], v[64:65]
	v_mul_f64 v[64:65], v[32:33], s[40:41]
	v_add_f64 v[46:47], v[46:47], v[66:67]
	v_mul_f64 v[66:67], v[34:35], s[38:39]
	v_add_f64 v[60:61], v[60:61], v[68:69]
	v_add_f64 v[62:63], v[62:63], v[70:71]
	v_fma_f64 v[68:69], s[14:15], v[50:51], v[64:65]
	v_fma_f64 v[64:65], v[50:51], s[14:15], -v[64:65]
	v_fma_f64 v[70:71], v[48:49], s[0:1], -v[66:67]
	v_fmac_f64_e32 v[66:67], s[0:1], v[48:49]
	v_add_f64 v[64:65], v[64:65], v[104:105]
	v_mul_f64 v[104:105], v[32:33], s[38:39]
	v_add_f64 v[66:67], v[66:67], v[106:107]
	v_mul_f64 v[106:107], v[34:35], s[22:23]
	v_add_f64 v[68:69], v[68:69], v[112:113]
	v_add_f64 v[70:71], v[70:71], v[114:115]
	v_fma_f64 v[112:113], s[0:1], v[50:51], v[104:105]
	v_fma_f64 v[104:105], v[50:51], s[0:1], -v[104:105]
	v_fma_f64 v[114:115], v[48:49], s[12:13], -v[106:107]
	v_fmac_f64_e32 v[106:107], s[12:13], v[48:49]
	s_mov_b32 s47, 0x3fcea1e5
	s_mov_b32 s46, s30
	v_add_f64 v[104:105], v[104:105], v[116:117]
	v_mul_f64 v[116:117], v[32:33], s[22:23]
	v_add_f64 v[106:107], v[106:107], v[120:121]
	v_mul_f64 v[120:121], v[34:35], s[46:47]
	s_mov_b32 s45, 0x3fea55e2
	s_mov_b32 s44, s26
	v_add_f64 v[112:113], v[112:113], v[118:119]
	v_add_f64 v[114:115], v[114:115], v[122:123]
	v_fma_f64 v[118:119], s[12:13], v[50:51], v[116:117]
	v_fma_f64 v[116:117], v[50:51], s[12:13], -v[116:117]
	v_fma_f64 v[122:123], v[48:49], s[18:19], -v[120:121]
	v_fmac_f64_e32 v[120:121], s[18:19], v[48:49]
	v_mul_f64 v[34:35], v[34:35], s[44:45]
	v_add_f64 v[116:117], v[116:117], v[124:125]
	v_mul_f64 v[124:125], v[32:33], s[46:47]
	v_add_f64 v[120:121], v[120:121], v[128:129]
	v_fma_f64 v[128:129], v[48:49], s[8:9], -v[34:35]
	v_mul_f64 v[32:33], v[32:33], s[44:45]
	v_fmac_f64_e32 v[34:35], s[8:9], v[48:49]
	v_add_f64 v[122:123], v[122:123], v[130:131]
	v_fma_f64 v[130:131], s[8:9], v[50:51], v[32:33]
	v_add_f64 v[34:35], v[34:35], v[42:43]
	v_fma_f64 v[32:33], v[50:51], s[8:9], -v[32:33]
	v_add_f64 v[42:43], v[26:27], v[30:31]
	v_add_f64 v[26:27], v[26:27], -v[30:31]
	v_add_f64 v[32:33], v[32:33], v[40:41]
	v_add_f64 v[40:41], v[24:25], v[28:29]
	v_add_f64 v[24:25], v[24:25], -v[28:29]
	v_mul_f64 v[28:29], v[26:27], s[28:29]
	v_fma_f64 v[30:31], v[40:41], s[14:15], -v[28:29]
	v_add_f64 v[30:31], v[30:31], v[38:39]
	v_mul_f64 v[38:39], v[24:25], s[28:29]
	v_fmac_f64_e32 v[28:29], s[14:15], v[40:41]
	v_fma_f64 v[48:49], s[14:15], v[42:43], v[38:39]
	v_add_f64 v[28:29], v[28:29], v[36:37]
	v_fma_f64 v[36:37], v[42:43], s[14:15], -v[38:39]
	v_mul_f64 v[38:39], v[26:27], s[36:37]
	v_add_f64 v[118:119], v[118:119], v[126:127]
	v_fma_f64 v[126:127], s[18:19], v[50:51], v[124:125]
	v_fma_f64 v[124:125], v[50:51], s[18:19], -v[124:125]
	v_add_f64 v[36:37], v[36:37], v[44:45]
	v_fma_f64 v[44:45], v[40:41], s[12:13], -v[38:39]
	v_mul_f64 v[50:51], v[24:25], s[36:37]
	v_fmac_f64_e32 v[38:39], s[12:13], v[40:41]
	v_add_f64 v[48:49], v[48:49], v[60:61]
	v_fma_f64 v[60:61], s[12:13], v[42:43], v[50:51]
	v_add_f64 v[38:39], v[38:39], v[46:47]
	v_fma_f64 v[46:47], v[42:43], s[12:13], -v[50:51]
	v_mul_f64 v[50:51], v[26:27], s[26:27]
	v_add_f64 v[44:45], v[44:45], v[62:63]
	v_add_f64 v[46:47], v[46:47], v[64:65]
	v_fma_f64 v[62:63], v[40:41], s[8:9], -v[50:51]
	v_mul_f64 v[64:65], v[24:25], s[26:27]
	v_fmac_f64_e32 v[50:51], s[8:9], v[40:41]
	v_add_f64 v[66:67], v[50:51], v[66:67]
	v_fma_f64 v[50:51], v[42:43], s[8:9], -v[64:65]
	v_add_f64 v[60:61], v[60:61], v[68:69]
	v_fma_f64 v[68:69], s[8:9], v[42:43], v[64:65]
	v_add_f64 v[64:65], v[50:51], v[104:105]
	v_mul_f64 v[50:51], v[26:27], s[46:47]
	v_add_f64 v[62:63], v[62:63], v[70:71]
	v_fma_f64 v[70:71], v[40:41], s[18:19], -v[50:51]
	v_mul_f64 v[104:105], v[24:25], s[46:47]
	v_fmac_f64_e32 v[50:51], s[18:19], v[40:41]
	v_add_f64 v[106:107], v[50:51], v[106:107]
	v_fma_f64 v[50:51], v[42:43], s[18:19], -v[104:105]
	v_add_f64 v[140:141], v[140:141], v[148:149]
	v_add_f64 v[68:69], v[68:69], v[112:113]
	v_fma_f64 v[112:113], s[18:19], v[42:43], v[104:105]
	v_add_f64 v[104:105], v[50:51], v[116:117]
	v_mul_f64 v[50:51], v[26:27], s[38:39]
	v_add_f64 v[144:145], v[144:145], v[152:153]
	v_add_f64 v[132:133], v[132:133], v[140:141]
	;; [unrolled: 1-line block ×3, first 2 shown]
	v_fma_f64 v[114:115], v[40:41], s[0:1], -v[50:51]
	v_mul_f64 v[116:117], v[24:25], s[38:39]
	v_fmac_f64_e32 v[50:51], s[0:1], v[40:41]
	v_add_f64 v[146:147], v[146:147], v[154:155]
	v_add_f64 v[136:137], v[136:137], v[144:145]
	;; [unrolled: 1-line block ×4, first 2 shown]
	v_fma_f64 v[50:51], v[42:43], s[0:1], -v[116:117]
	v_mul_f64 v[26:27], v[26:27], s[24:25]
	v_add_f64 v[142:143], v[142:143], v[150:151]
	v_add_f64 v[138:139], v[138:139], v[146:147]
	v_add_f64 v[128:129], v[128:129], v[136:137]
	v_add_f64 v[112:113], v[112:113], v[118:119]
	v_fma_f64 v[118:119], s[0:1], v[42:43], v[116:117]
	v_add_f64 v[116:117], v[50:51], v[124:125]
	v_fma_f64 v[50:51], v[40:41], s[20:21], -v[26:27]
	v_mul_f64 v[24:25], v[24:25], s[24:25]
	v_add_f64 v[134:135], v[134:135], v[142:143]
	v_add_f64 v[130:131], v[130:131], v[138:139]
	v_add_f64 v[114:115], v[114:115], v[122:123]
	v_add_f64 v[122:123], v[50:51], v[128:129]
	v_fma_f64 v[50:51], s[20:21], v[42:43], v[24:25]
	v_fma_f64 v[24:25], v[42:43], s[20:21], -v[24:25]
	v_add_f64 v[136:137], v[54:55], -v[58:59]
	v_add_f64 v[126:127], v[126:127], v[134:135]
	v_add_f64 v[124:125], v[50:51], v[130:131]
	v_fmac_f64_e32 v[26:27], s[20:21], v[40:41]
	v_add_f64 v[128:129], v[24:25], v[32:33]
	v_add_f64 v[130:131], v[52:53], v[56:57]
	v_mul_f64 v[24:25], v[136:137], s[30:31]
	v_add_f64 v[118:119], v[118:119], v[126:127]
	v_add_f64 v[126:127], v[26:27], v[34:35]
	v_add_f64 v[134:135], v[52:53], -v[56:57]
	v_fma_f64 v[26:27], v[130:131], s[18:19], -v[24:25]
	v_add_f64 v[132:133], v[54:55], v[58:59]
	v_add_f64 v[32:33], v[26:27], v[30:31]
	v_mul_f64 v[26:27], v[134:135], s[30:31]
	v_fmac_f64_e32 v[24:25], s[18:19], v[130:131]
	v_fma_f64 v[30:31], s[18:19], v[132:133], v[26:27]
	v_add_f64 v[24:25], v[24:25], v[28:29]
	v_mul_f64 v[28:29], v[136:137], s[38:39]
	v_add_f64 v[34:35], v[30:31], v[48:49]
	v_fma_f64 v[30:31], v[130:131], s[0:1], -v[28:29]
	v_fma_f64 v[26:27], v[132:133], s[18:19], -v[26:27]
	v_add_f64 v[40:41], v[30:31], v[44:45]
	v_mul_f64 v[30:31], v[134:135], s[38:39]
	v_add_f64 v[26:27], v[26:27], v[36:37]
	v_fma_f64 v[36:37], s[0:1], v[132:133], v[30:31]
	v_add_f64 v[42:43], v[36:37], v[60:61]
	v_fmac_f64_e32 v[28:29], s[0:1], v[130:131]
	v_mul_f64 v[36:37], v[136:137], s[28:29]
	v_add_f64 v[28:29], v[28:29], v[38:39]
	v_fma_f64 v[38:39], v[130:131], s[14:15], -v[36:37]
	v_add_f64 v[48:49], v[38:39], v[62:63]
	v_mul_f64 v[38:39], v[134:135], s[28:29]
	v_fma_f64 v[44:45], s[14:15], v[132:133], v[38:39]
	v_fma_f64 v[30:31], v[132:133], s[0:1], -v[30:31]
	v_add_f64 v[50:51], v[44:45], v[68:69]
	v_mul_f64 v[44:45], v[136:137], s[44:45]
	v_add_f64 v[30:31], v[30:31], v[46:47]
	v_fma_f64 v[46:47], v[130:131], s[8:9], -v[44:45]
	v_add_f64 v[52:53], v[46:47], v[70:71]
	v_mul_f64 v[46:47], v[134:135], s[44:45]
	v_fma_f64 v[54:55], s[8:9], v[132:133], v[46:47]
	v_fma_f64 v[46:47], v[132:133], s[8:9], -v[46:47]
	v_add_f64 v[208:209], v[6:7], -v[98:99]
	v_fmac_f64_e32 v[44:45], s[8:9], v[130:131]
	v_add_f64 v[46:47], v[46:47], v[104:105]
	v_add_f64 v[198:199], v[4:5], -v[96:97]
	v_mul_f64 v[104:105], v[208:209], s[34:35]
	v_add_f64 v[218:219], v[10:11], -v[94:95]
	v_add_f64 v[44:45], v[44:45], v[106:107]
	v_mul_f64 v[56:57], v[136:137], s[24:25]
	v_add_f64 v[178:179], v[4:5], v[96:97]
	v_mul_f64 v[106:107], v[198:199], s[34:35]
	v_accvgpr_write_b32 a78, v104
	v_mul_f64 v[110:111], v[218:219], s[26:27]
	v_fma_f64 v[58:59], v[130:131], s[20:21], -v[56:57]
	v_add_f64 v[180:181], v[6:7], v[98:99]
	v_accvgpr_write_b32 a79, v105
	v_fma_f64 v[104:105], s[0:1], v[178:179], v[104:105]
	v_accvgpr_write_b32 a80, v106
	v_add_f64 v[164:165], v[8:9], v[92:93]
	v_add_f64 v[210:211], v[8:9], -v[92:93]
	v_accvgpr_write_b32 a82, v110
	v_add_f64 v[230:231], v[14:15], -v[90:91]
	v_add_f64 v[54:55], v[54:55], v[112:113]
	v_add_f64 v[60:61], v[58:59], v[114:115]
	v_add_f64 v[104:105], v[0:1], v[104:105]
	v_accvgpr_write_b32 a81, v107
	v_fma_f64 v[106:107], v[180:181], s[0:1], -v[106:107]
	v_add_f64 v[166:167], v[10:11], v[94:95]
	v_mul_f64 v[114:115], v[210:211], s[26:27]
	v_accvgpr_write_b32 a83, v111
	v_fma_f64 v[112:113], s[8:9], v[164:165], v[110:111]
	v_mul_f64 v[110:111], v[230:231], s[22:23]
	v_add_f64 v[106:107], v[2:3], v[106:107]
	v_add_f64 v[104:105], v[112:113], v[104:105]
	v_accvgpr_write_b32 a84, v114
	v_fma_f64 v[112:113], v[166:167], s[8:9], -v[114:115]
	v_add_f64 v[154:155], v[12:13], v[88:89]
	v_add_f64 v[220:221], v[12:13], -v[88:89]
	v_accvgpr_write_b32 a86, v110
	v_add_f64 v[240:241], v[18:19], -v[86:87]
	v_accvgpr_write_b32 a85, v115
	v_add_f64 v[106:107], v[112:113], v[106:107]
	v_add_f64 v[156:157], v[14:15], v[90:91]
	v_mul_f64 v[114:115], v[220:221], s[22:23]
	v_accvgpr_write_b32 a87, v111
	v_fma_f64 v[112:113], s[12:13], v[154:155], v[110:111]
	v_mul_f64 v[110:111], v[240:241], s[24:25]
	v_add_f64 v[104:105], v[112:113], v[104:105]
	v_accvgpr_write_b32 a88, v114
	v_fma_f64 v[112:113], v[156:157], s[12:13], -v[114:115]
	v_add_f64 v[152:153], v[16:17], v[84:85]
	v_add_f64 v[234:235], v[16:17], -v[84:85]
	v_accvgpr_write_b32 a90, v110
	v_add_f64 v[246:247], v[22:23], -v[82:83]
	v_accvgpr_write_b32 a89, v115
	v_add_f64 v[106:107], v[112:113], v[106:107]
	v_add_f64 v[158:159], v[18:19], v[86:87]
	v_mul_f64 v[114:115], v[234:235], s[24:25]
	v_accvgpr_write_b32 a91, v111
	v_fma_f64 v[112:113], s[20:21], v[152:153], v[110:111]
	v_mul_f64 v[110:111], v[246:247], s[28:29]
	v_add_f64 v[104:105], v[112:113], v[104:105]
	v_fma_f64 v[112:113], v[158:159], s[20:21], -v[114:115]
	v_add_f64 v[162:163], v[20:21], v[80:81]
	v_accvgpr_write_b32 a94, v110
	v_add_f64 v[244:245], v[20:21], -v[80:81]
	v_add_f64 v[106:107], v[112:113], v[106:107]
	v_accvgpr_write_b32 a95, v111
	v_fma_f64 v[112:113], s[14:15], v[162:163], v[110:111]
	v_mul_f64 v[110:111], v[244:245], s[28:29]
	v_add_f64 v[170:171], v[22:23], v[82:83]
	v_accvgpr_write_b32 a96, v110
	v_add_f64 v[254:255], v[74:75], -v[78:79]
	v_add_f64 v[104:105], v[112:113], v[104:105]
	v_accvgpr_write_b32 a97, v111
	v_fma_f64 v[112:113], v[170:171], s[14:15], -v[110:111]
	v_add_f64 v[172:173], v[72:73], v[76:77]
	v_mul_f64 v[110:111], v[254:255], s[30:31]
	v_add_f64 v[106:107], v[112:113], v[106:107]
	v_fma_f64 v[112:113], s[18:19], v[172:173], v[110:111]
	v_add_f64 v[252:253], v[72:73], -v[76:77]
	v_add_f64 v[112:113], v[112:113], v[104:105]
	v_mul_f64 v[104:105], v[252:253], s[30:31]
	v_add_f64 v[176:177], v[74:75], v[78:79]
	v_accvgpr_write_b32 a100, v104
	v_accvgpr_write_b32 a92, v114
	;; [unrolled: 1-line block ×3, first 2 shown]
	v_fma_f64 v[104:105], v[176:177], s[18:19], -v[104:105]
	v_accvgpr_write_b32 a93, v115
	v_add_f64 v[114:115], v[104:105], v[106:107]
	v_mul_f64 v[104:105], v[208:209], s[26:27]
	v_accvgpr_write_b32 a98, v110
	v_accvgpr_write_b32 a102, v104
	v_accvgpr_write_b32 a99, v111
	v_accvgpr_write_b32 a103, v105
	v_fma_f64 v[104:105], s[8:9], v[178:179], v[104:105]
	v_mul_f64 v[110:111], v[218:219], s[24:25]
	v_add_f64 v[104:105], v[0:1], v[104:105]
	v_fma_f64 v[106:107], s[20:21], v[164:165], v[110:111]
	v_mul_f64 v[138:139], v[198:199], s[26:27]
	v_accvgpr_write_b32 a56, v112
	v_add_f64 v[104:105], v[106:107], v[104:105]
	v_fma_f64 v[106:107], v[180:181], s[8:9], -v[138:139]
	v_mul_f64 v[142:143], v[210:211], s[24:25]
	v_mul_f64 v[68:69], v[136:137], s[36:37]
	v_accvgpr_write_b32 a57, v113
	v_accvgpr_write_b32 a58, v114
	;; [unrolled: 1-line block ×3, first 2 shown]
	v_add_f64 v[106:107], v[2:3], v[106:107]
	v_fma_f64 v[112:113], v[166:167], s[20:21], -v[142:143]
	v_mul_f64 v[136:137], v[230:231], s[30:31]
	v_add_f64 v[106:107], v[112:113], v[106:107]
	v_fma_f64 v[112:113], s[18:19], v[154:155], v[136:137]
	v_mul_f64 v[146:147], v[220:221], s[30:31]
	v_add_f64 v[104:105], v[112:113], v[104:105]
	v_fma_f64 v[112:113], v[156:157], s[18:19], -v[146:147]
	v_mul_f64 v[140:141], v[240:241], s[40:41]
	v_add_f64 v[106:107], v[112:113], v[106:107]
	v_fma_f64 v[112:113], s[14:15], v[152:153], v[140:141]
	v_mul_f64 v[150:151], v[234:235], s[40:41]
	;; [unrolled: 6-line block ×5, first 2 shown]
	v_add_f64 v[104:105], v[0:1], v[104:105]
	v_fma_f64 v[106:107], s[18:19], v[164:165], v[182:183]
	v_mul_f64 v[186:187], v[198:199], s[22:23]
	v_accvgpr_write_b32 a60, v112
	v_add_f64 v[104:105], v[106:107], v[104:105]
	v_fma_f64 v[106:107], v[180:181], s[12:13], -v[186:187]
	v_mul_f64 v[190:191], v[210:211], s[30:31]
	v_accvgpr_write_b32 a61, v113
	v_accvgpr_write_b32 a62, v114
	;; [unrolled: 1-line block ×3, first 2 shown]
	v_add_f64 v[106:107], v[2:3], v[106:107]
	v_fma_f64 v[112:113], v[166:167], s[18:19], -v[190:191]
	v_mul_f64 v[184:185], v[230:231], s[42:43]
	v_add_f64 v[106:107], v[112:113], v[106:107]
	v_fma_f64 v[112:113], s[20:21], v[154:155], v[184:185]
	v_mul_f64 v[194:195], v[220:221], s[42:43]
	v_add_f64 v[104:105], v[112:113], v[104:105]
	v_fma_f64 v[112:113], v[156:157], s[20:21], -v[194:195]
	v_mul_f64 v[188:189], v[240:241], s[38:39]
	v_add_f64 v[106:107], v[112:113], v[106:107]
	v_fma_f64 v[112:113], s[0:1], v[152:153], v[188:189]
	v_mul_f64 v[200:201], v[234:235], s[38:39]
	;; [unrolled: 6-line block ×5, first 2 shown]
	v_add_f64 v[104:105], v[0:1], v[104:105]
	v_fma_f64 v[106:107], s[14:15], v[164:165], v[212:213]
	v_mul_f64 v[226:227], v[198:199], s[24:25]
	v_accvgpr_write_b32 a64, v112
	v_add_f64 v[104:105], v[106:107], v[104:105]
	v_fma_f64 v[106:107], v[180:181], s[20:21], -v[226:227]
	v_mul_f64 v[228:229], v[210:211], s[40:41]
	v_accvgpr_write_b32 a65, v113
	v_accvgpr_write_b32 a66, v114
	;; [unrolled: 1-line block ×3, first 2 shown]
	v_add_f64 v[106:107], v[2:3], v[106:107]
	v_fma_f64 v[112:113], v[166:167], s[14:15], -v[228:229]
	v_mul_f64 v[214:215], v[230:231], s[38:39]
	v_add_f64 v[106:107], v[112:113], v[106:107]
	v_fma_f64 v[112:113], s[0:1], v[154:155], v[214:215]
	v_mul_f64 v[232:233], v[220:221], s[38:39]
	v_add_f64 v[104:105], v[112:113], v[104:105]
	v_fma_f64 v[112:113], v[156:157], s[0:1], -v[232:233]
	v_mul_f64 v[216:217], v[240:241], s[22:23]
	v_add_f64 v[106:107], v[112:113], v[106:107]
	v_fma_f64 v[112:113], s[12:13], v[152:153], v[216:217]
	v_mul_f64 v[236:237], v[234:235], s[22:23]
	v_add_f64 v[104:105], v[112:113], v[104:105]
	v_fma_f64 v[112:113], v[158:159], s[12:13], -v[236:237]
	v_mul_f64 v[222:223], v[246:247], s[46:47]
	v_add_f64 v[106:107], v[112:113], v[106:107]
	v_fma_f64 v[112:113], s[18:19], v[162:163], v[222:223]
	v_mul_f64 v[238:239], v[244:245], s[46:47]
	v_add_f64 v[104:105], v[112:113], v[104:105]
	v_fma_f64 v[112:113], v[170:171], s[18:19], -v[238:239]
	v_mul_f64 v[224:225], v[254:255], s[44:45]
	v_add_f64 v[106:107], v[112:113], v[106:107]
	v_fma_f64 v[112:113], s[8:9], v[172:173], v[224:225]
	v_mul_f64 v[242:243], v[252:253], s[44:45]
	v_mul_f64 v[58:59], v[134:135], s[24:25]
	v_add_f64 v[112:113], v[112:113], v[104:105]
	v_fma_f64 v[104:105], v[176:177], s[8:9], -v[242:243]
	v_mul_f64 v[248:249], v[208:209], s[28:29]
	v_fma_f64 v[62:63], s[20:21], v[132:133], v[58:59]
	v_fma_f64 v[58:59], v[132:133], s[20:21], -v[58:59]
	v_add_f64 v[114:115], v[104:105], v[106:107]
	v_fma_f64 v[104:105], s[14:15], v[178:179], v[248:249]
	v_mul_f64 v[250:251], v[218:219], s[36:37]
	v_add_f64 v[58:59], v[58:59], v[116:117]
	v_add_f64 v[104:105], v[0:1], v[104:105]
	v_fma_f64 v[106:107], s[12:13], v[164:165], v[250:251]
	v_mul_f64 v[116:117], v[198:199], s[28:29]
	v_add_f64 v[62:63], v[62:63], v[118:119]
	v_accvgpr_write_b32 a68, v112
	v_add_f64 v[106:107], v[106:107], v[104:105]
	v_fma_f64 v[104:105], v[180:181], s[14:15], -v[116:117]
	v_mul_f64 v[118:119], v[210:211], s[36:37]
	v_accvgpr_write_b32 a69, v113
	v_accvgpr_write_b32 a70, v114
	;; [unrolled: 1-line block ×3, first 2 shown]
	v_add_f64 v[104:105], v[2:3], v[104:105]
	v_fma_f64 v[112:113], v[166:167], s[12:13], -v[118:119]
	v_fmac_f64_e32 v[56:57], s[20:21], v[130:131]
	v_add_f64 v[112:113], v[112:113], v[104:105]
	v_mul_f64 v[104:105], v[230:231], s[26:27]
	v_add_f64 v[56:57], v[56:57], v[120:121]
	v_fma_f64 v[114:115], s[8:9], v[154:155], v[104:105]
	v_mul_f64 v[120:121], v[220:221], s[26:27]
	v_fma_f64 v[38:39], v[132:133], s[14:15], -v[38:39]
	v_add_f64 v[114:115], v[114:115], v[106:107]
	v_fma_f64 v[106:107], v[156:157], s[8:9], -v[120:121]
	v_add_f64 v[38:39], v[38:39], v[64:65]
	;; [unrolled: 2-line block ×3, first 2 shown]
	v_mul_f64 v[106:107], v[240:241], s[46:47]
	v_fmac_f64_e32 v[36:37], s[14:15], v[130:131]
	v_add_f64 v[64:65], v[64:65], v[122:123]
	v_mul_f64 v[70:71], v[134:135], s[36:37]
	v_fma_f64 v[122:123], s[18:19], v[152:153], v[106:107]
	v_add_f64 v[36:37], v[36:37], v[66:67]
	v_fma_f64 v[66:67], s[12:13], v[132:133], v[70:71]
	v_add_f64 v[114:115], v[122:123], v[114:115]
	v_mul_f64 v[122:123], v[234:235], s[46:47]
	v_add_f64 v[66:67], v[66:67], v[124:125]
	v_fmac_f64_e32 v[68:69], s[12:13], v[130:131]
	v_fma_f64 v[124:125], v[158:159], s[18:19], -v[122:123]
	v_add_f64 v[68:69], v[68:69], v[126:127]
	v_add_f64 v[126:127], v[124:125], v[112:113]
	v_mul_f64 v[112:113], v[246:247], s[38:39]
	v_fma_f64 v[70:71], v[132:133], s[12:13], -v[70:71]
	v_fma_f64 v[124:125], s[0:1], v[162:163], v[112:113]
	v_add_f64 v[70:71], v[70:71], v[128:129]
	v_add_f64 v[128:129], v[124:125], v[114:115]
	v_mul_f64 v[124:125], v[244:245], s[38:39]
	v_fma_f64 v[114:115], v[170:171], s[0:1], -v[124:125]
	v_add_f64 v[130:131], v[114:115], v[126:127]
	v_mul_f64 v[114:115], v[254:255], s[24:25]
	v_fma_f64 v[126:127], s[20:21], v[172:173], v[114:115]
	v_add_f64 v[132:133], v[126:127], v[128:129]
	v_mul_f64 v[126:127], v[252:253], s[24:25]
	v_fma_f64 v[128:129], v[176:177], s[20:21], -v[126:127]
	v_add_f64 v[134:135], v[128:129], v[130:131]
	v_accvgpr_read_b32 v129, a1
	v_accvgpr_read_b32 v128, a0
	v_mul_lo_u16_e32 v109, 13, v128
	v_lshlrev_b32_e32 v109, 4, v109
	s_mov_b64 s[48:49], 0x5b
	s_barrier
	ds_write_b128 v109, v[100:103]
	ds_write_b128 v109, v[32:35] offset:16
	ds_write_b128 v109, v[40:43] offset:32
	;; [unrolled: 1-line block ×12, first 2 shown]
	v_lshl_add_u64 v[36:37], v[128:129], 0, s[48:49]
	v_accvgpr_write_b32 a72, v132
	v_mul_u32_u24_e32 v24, 13, v36
	v_accvgpr_write_b32 a73, v133
	v_accvgpr_write_b32 a74, v134
	;; [unrolled: 1-line block ×4, first 2 shown]
	s_and_saveexec_b64 s[48:49], vcc
	s_cbranch_execz .LBB0_7
; %bb.6:
	v_mul_f64 v[40:41], v[180:181], s[18:19]
	v_mul_f64 v[30:31], v[166:167], s[0:1]
	v_fma_f64 v[26:27], s[46:47], v[198:199], v[40:41]
	v_mul_f64 v[28:29], v[156:157], s[14:15]
	v_fma_f64 v[24:25], s[34:35], v[210:211], v[30:31]
	v_add_f64 v[26:27], v[2:3], v[26:27]
	v_add_f64 v[24:25], v[24:25], v[26:27]
	v_fma_f64 v[26:27], s[40:41], v[220:221], v[28:29]
	v_mul_f64 v[44:45], v[158:159], s[8:9]
	v_add_f64 v[24:25], v[26:27], v[24:25]
	v_fma_f64 v[26:27], s[26:27], v[234:235], v[44:45]
	v_mul_f64 v[46:47], v[170:171], s[20:21]
	;; [unrolled: 3-line block ×3, first 2 shown]
	v_fmac_f64_e32 v[40:41], s[30:31], v[198:199]
	v_add_f64 v[24:25], v[26:27], v[24:25]
	v_mul_f64 v[48:49], v[218:219], s[38:39]
	v_fma_f64 v[26:27], s[18:19], v[178:179], v[50:51]
	v_fmac_f64_e32 v[30:31], s[38:39], v[210:211]
	v_add_f64 v[40:41], v[2:3], v[40:41]
	v_add_f64 v[26:27], v[0:1], v[26:27]
	v_fma_f64 v[32:33], s[0:1], v[164:165], v[48:49]
	v_mul_f64 v[52:53], v[230:231], s[28:29]
	v_fmac_f64_e32 v[28:29], s[28:29], v[220:221]
	v_add_f64 v[30:31], v[30:31], v[40:41]
	v_fma_f64 v[40:41], v[178:179], s[18:19], -v[50:51]
	v_add_f64 v[26:27], v[32:33], v[26:27]
	v_fma_f64 v[32:33], s[14:15], v[154:155], v[52:53]
	v_mul_f64 v[54:55], v[240:241], s[44:45]
	v_fmac_f64_e32 v[44:45], s[44:45], v[234:235]
	v_add_f64 v[28:29], v[28:29], v[30:31]
	v_fma_f64 v[30:31], v[164:165], s[0:1], -v[48:49]
	v_add_f64 v[40:41], v[0:1], v[40:41]
	v_add_f64 v[26:27], v[32:33], v[26:27]
	v_fma_f64 v[32:33], s[8:9], v[152:153], v[54:55]
	v_mul_f64 v[56:57], v[246:247], s[24:25]
	v_fmac_f64_e32 v[46:47], s[24:25], v[244:245]
	v_add_f64 v[28:29], v[44:45], v[28:29]
	v_add_f64 v[30:31], v[30:31], v[40:41]
	v_fma_f64 v[40:41], v[154:155], s[14:15], -v[52:53]
	v_add_f64 v[26:27], v[32:33], v[26:27]
	v_fma_f64 v[32:33], s[20:21], v[162:163], v[56:57]
	v_mul_f64 v[58:59], v[176:177], s[12:13]
	v_add_f64 v[28:29], v[46:47], v[28:29]
	v_mul_f64 v[46:47], v[180:181], s[14:15]
	v_add_f64 v[30:31], v[40:41], v[30:31]
	v_fma_f64 v[50:51], v[152:153], s[8:9], -v[54:55]
	v_add_f64 v[32:33], v[32:33], v[26:27]
	v_fma_f64 v[26:27], s[22:23], v[252:253], v[58:59]
	v_mul_f64 v[60:61], v[254:255], s[36:37]
	v_fmac_f64_e32 v[58:59], s[36:37], v[252:253]
	v_add_f64 v[30:31], v[50:51], v[30:31]
	v_fma_f64 v[50:51], v[162:163], s[20:21], -v[56:57]
	v_mul_f64 v[70:71], v[166:167], s[12:13]
	v_add_f64 v[46:47], v[116:117], v[46:47]
	v_add_f64 v[26:27], v[26:27], v[24:25]
	v_fma_f64 v[24:25], s[12:13], v[172:173], v[60:61]
	v_add_f64 v[50:51], v[50:51], v[30:31]
	v_add_f64 v[30:31], v[58:59], v[28:29]
	v_fma_f64 v[28:29], v[172:173], s[12:13], -v[60:61]
	v_mul_f64 v[60:61], v[156:157], s[8:9]
	v_add_f64 v[70:71], v[118:119], v[70:71]
	v_add_f64 v[46:47], v[2:3], v[46:47]
	v_mul_f64 v[54:55], v[158:159], s[18:19]
	v_add_f64 v[60:61], v[120:121], v[60:61]
	v_add_f64 v[46:47], v[70:71], v[46:47]
	;; [unrolled: 3-line block ×4, first 2 shown]
	v_mul_f64 v[54:55], v[162:163], s[0:1]
	v_mul_f64 v[118:119], v[164:165], s[12:13]
	v_add_f64 v[46:47], v[52:53], v[46:47]
	v_mul_f64 v[52:53], v[172:173], s[20:21]
	v_add_f64 v[54:55], v[54:55], -v[112:113]
	v_mul_f64 v[112:113], v[152:153], s[18:19]
	v_add_f64 v[44:45], v[44:45], -v[248:249]
	v_add_f64 v[52:53], v[52:53], -v[114:115]
	;; [unrolled: 1-line block ×3, first 2 shown]
	v_mul_f64 v[112:113], v[154:155], s[8:9]
	v_add_f64 v[114:115], v[118:119], -v[250:251]
	v_add_f64 v[44:45], v[0:1], v[44:45]
	v_mul_f64 v[48:49], v[180:181], s[20:21]
	v_add_f64 v[104:105], v[112:113], -v[104:105]
	v_add_f64 v[44:45], v[114:115], v[44:45]
	v_mul_f64 v[64:65], v[180:181], s[12:13]
	v_mul_f64 v[66:67], v[178:179], s[20:21]
	v_add_f64 v[28:29], v[28:29], v[50:51]
	v_mul_f64 v[50:51], v[176:177], s[20:21]
	v_mul_f64 v[116:117], v[166:167], s[14:15]
	v_add_f64 v[44:45], v[104:105], v[44:45]
	v_add_f64 v[48:49], v[226:227], v[48:49]
	v_mul_f64 v[62:63], v[178:179], s[12:13]
	v_add_f64 v[50:51], v[126:127], v[50:51]
	v_mul_f64 v[102:103], v[166:167], s[18:19]
	v_mul_f64 v[70:71], v[164:165], s[14:15]
	;; [unrolled: 1-line block ×3, first 2 shown]
	v_add_f64 v[44:45], v[106:107], v[44:45]
	v_add_f64 v[116:117], v[228:229], v[116:117]
	;; [unrolled: 1-line block ×3, first 2 shown]
	v_add_f64 v[66:67], v[66:67], -v[206:207]
	v_add_f64 v[64:65], v[186:187], v[64:65]
	v_mul_f64 v[42:43], v[180:181], s[8:9]
	v_mul_f64 v[100:101], v[164:165], s[18:19]
	;; [unrolled: 1-line block ×3, first 2 shown]
	v_add_f64 v[44:45], v[54:55], v[44:45]
	v_mul_f64 v[54:55], v[158:159], s[12:13]
	v_add_f64 v[126:127], v[232:233], v[126:127]
	v_add_f64 v[48:49], v[116:117], v[48:49]
	v_add_f64 v[70:71], v[70:71], -v[212:213]
	v_add_f64 v[66:67], v[0:1], v[66:67]
	v_add_f64 v[102:103], v[190:191], v[102:103]
	;; [unrolled: 1-line block ×3, first 2 shown]
	v_add_f64 v[62:63], v[62:63], -v[174:175]
	v_mul_f64 v[58:59], v[166:167], s[20:21]
	v_mul_f64 v[122:123], v[154:155], s[20:21]
	v_add_f64 v[44:45], v[52:53], v[44:45]
	v_mul_f64 v[52:53], v[170:171], s[18:19]
	v_add_f64 v[54:55], v[236:237], v[54:55]
	v_add_f64 v[48:49], v[126:127], v[48:49]
	;; [unrolled: 1-line block ×5, first 2 shown]
	v_add_f64 v[100:101], v[100:101], -v[182:183]
	v_add_f64 v[62:63], v[0:1], v[62:63]
	v_add_f64 v[42:43], v[138:139], v[42:43]
	v_mul_f64 v[118:119], v[156:157], s[18:19]
	v_add_f64 v[46:47], v[50:51], v[46:47]
	v_mul_f64 v[50:51], v[176:177], s[8:9]
	v_add_f64 v[52:53], v[238:239], v[52:53]
	v_add_f64 v[48:49], v[54:55], v[48:49]
	v_add_f64 v[64:65], v[70:71], v[64:65]
	v_add_f64 v[70:71], v[122:123], -v[184:185]
	v_add_f64 v[62:63], v[100:101], v[62:63]
	v_add_f64 v[58:59], v[142:143], v[58:59]
	;; [unrolled: 1-line block ×3, first 2 shown]
	v_mul_f64 v[124:125], v[154:155], s[0:1]
	v_add_f64 v[50:51], v[242:243], v[50:51]
	v_add_f64 v[48:49], v[52:53], v[48:49]
	v_add_f64 v[62:63], v[70:71], v[62:63]
	v_add_f64 v[70:71], v[146:147], v[118:119]
	v_add_f64 v[42:43], v[58:59], v[42:43]
	v_mul_f64 v[120:121], v[156:157], s[12:13]
	v_mul_f64 v[156:157], v[158:159], s[0:1]
	v_add_f64 v[50:51], v[50:51], v[48:49]
	v_add_f64 v[48:49], v[124:125], -v[214:215]
	v_add_f64 v[42:43], v[70:71], v[42:43]
	v_accvgpr_read_b32 v70, a102
	v_mul_f64 v[38:39], v[178:179], s[8:9]
	v_mul_f64 v[60:61], v[154:155], s[12:13]
	;; [unrolled: 1-line block ×4, first 2 shown]
	v_add_f64 v[48:49], v[48:49], v[66:67]
	v_add_f64 v[66:67], v[200:201], v[156:157]
	v_accvgpr_read_b32 v71, a103
	v_mul_f64 v[56:57], v[164:165], s[20:21]
	v_mul_f64 v[104:105], v[152:153], s[20:21]
	;; [unrolled: 1-line block ×5, first 2 shown]
	v_add_f64 v[64:65], v[66:67], v[64:65]
	v_add_f64 v[66:67], v[154:155], -v[188:189]
	v_add_f64 v[38:39], v[38:39], -v[70:71]
	v_mul_f64 v[68:69], v[166:167], s[8:9]
	v_mul_f64 v[106:107], v[158:159], s[20:21]
	;; [unrolled: 1-line block ×6, first 2 shown]
	v_add_f64 v[152:153], v[152:153], -v[216:217]
	v_add_f64 v[62:63], v[66:67], v[62:63]
	v_add_f64 v[66:67], v[150:151], v[130:131]
	v_add_f64 v[56:57], v[56:57], -v[110:111]
	v_add_f64 v[38:39], v[0:1], v[38:39]
	v_mul_f64 v[40:41], v[164:165], s[8:9]
	v_mul_f64 v[164:165], v[170:171], s[14:15]
	;; [unrolled: 1-line block ×4, first 2 shown]
	v_add_f64 v[54:55], v[162:163], -v[222:223]
	v_add_f64 v[48:49], v[152:153], v[48:49]
	v_add_f64 v[42:43], v[66:67], v[42:43]
	v_add_f64 v[66:67], v[112:113], -v[136:137]
	v_add_f64 v[38:39], v[56:57], v[38:39]
	v_add_f64 v[48:49], v[54:55], v[48:49]
	;; [unrolled: 1-line block ×4, first 2 shown]
	v_accvgpr_read_b32 v66, a84
	v_add_f64 v[54:55], v[54:55], v[64:65]
	v_add_f64 v[64:65], v[126:127], -v[192:193]
	v_accvgpr_read_b32 v67, a85
	v_add_f64 v[62:63], v[64:65], v[62:63]
	v_add_f64 v[64:65], v[160:161], v[116:117]
	;; [unrolled: 1-line block ×3, first 2 shown]
	v_accvgpr_read_b32 v68, a80
	v_mul_f64 v[34:35], v[180:181], s[0:1]
	v_add_f64 v[42:43], v[64:65], v[42:43]
	v_add_f64 v[64:65], v[128:129], -v[140:141]
	v_accvgpr_read_b32 v69, a81
	v_add_f64 v[38:39], v[64:65], v[38:39]
	v_accvgpr_read_b32 v64, a88
	v_add_f64 v[34:35], v[68:69], v[34:35]
	;; [unrolled: 2-line block ×3, first 2 shown]
	v_add_f64 v[64:65], v[64:65], v[120:121]
	v_add_f64 v[34:35], v[66:67], v[34:35]
	;; [unrolled: 1-line block ×3, first 2 shown]
	v_accvgpr_read_b32 v64, a86
	v_accvgpr_read_b32 v65, a87
	v_add_f64 v[60:61], v[60:61], -v[64:65]
	v_accvgpr_read_b32 v64, a82
	v_accvgpr_read_b32 v65, a83
	v_add_f64 v[40:41], v[40:41], -v[64:65]
	v_accvgpr_read_b32 v64, a78
	v_add_f64 v[24:25], v[24:25], v[32:33]
	v_mul_f64 v[32:33], v[178:179], s[0:1]
	v_mul_f64 v[52:53], v[172:173], s[8:9]
	v_accvgpr_read_b32 v65, a79
	v_add_f64 v[52:53], v[52:53], -v[224:225]
	v_mul_f64 v[180:181], v[176:177], s[18:19]
	v_mul_f64 v[198:199], v[176:177], s[0:1]
	;; [unrolled: 1-line block ×3, first 2 shown]
	v_add_f64 v[32:33], v[32:33], -v[64:65]
	v_mul_f64 v[178:179], v[172:173], s[18:19]
	v_mul_f64 v[162:163], v[172:173], s[0:1]
	;; [unrolled: 1-line block ×3, first 2 shown]
	v_add_f64 v[48:49], v[52:53], v[48:49]
	v_add_f64 v[52:53], v[204:205], v[176:177]
	;; [unrolled: 1-line block ×6, first 2 shown]
	v_add_f64 v[52:53], v[172:173], -v[196:197]
	v_add_f64 v[2:3], v[2:3], v[10:11]
	v_add_f64 v[0:1], v[0:1], v[8:9]
	;; [unrolled: 1-line block ×7, first 2 shown]
	v_add_f64 v[62:63], v[166:167], -v[144:145]
	v_add_f64 v[2:3], v[2:3], v[18:19]
	v_add_f64 v[0:1], v[0:1], v[16:17]
	v_add_f64 v[42:43], v[162:163], -v[148:149]
	v_add_f64 v[38:39], v[62:63], v[38:39]
	v_accvgpr_read_b32 v62, a92
	v_add_f64 v[2:3], v[2:3], v[22:23]
	v_add_f64 v[0:1], v[0:1], v[20:21]
	;; [unrolled: 1-line block ×3, first 2 shown]
	v_accvgpr_read_b32 v42, a96
	v_accvgpr_read_b32 v63, a93
	v_add_f64 v[2:3], v[2:3], v[74:75]
	v_add_f64 v[0:1], v[0:1], v[72:73]
	v_accvgpr_read_b32 v38, a100
	v_accvgpr_read_b32 v43, a97
	v_add_f64 v[62:63], v[62:63], v[106:107]
	v_add_f64 v[2:3], v[2:3], v[78:79]
	;; [unrolled: 1-line block ×3, first 2 shown]
	v_accvgpr_read_b32 v39, a101
	v_add_f64 v[42:43], v[42:43], v[164:165]
	v_add_f64 v[34:35], v[62:63], v[34:35]
	v_accvgpr_read_b32 v62, a90
	v_add_f64 v[2:3], v[2:3], v[82:83]
	v_add_f64 v[0:1], v[0:1], v[80:81]
	;; [unrolled: 1-line block ×4, first 2 shown]
	v_accvgpr_read_b32 v42, a94
	v_accvgpr_read_b32 v63, a91
	v_add_f64 v[32:33], v[40:41], v[32:33]
	v_add_f64 v[2:3], v[2:3], v[86:87]
	v_add_f64 v[0:1], v[0:1], v[84:85]
	v_add_f64 v[34:35], v[38:39], v[34:35]
	v_accvgpr_read_b32 v38, a98
	v_accvgpr_read_b32 v43, a95
	v_add_f64 v[62:63], v[104:105], -v[62:63]
	v_add_f64 v[32:33], v[60:61], v[32:33]
	v_add_f64 v[2:3], v[2:3], v[90:91]
	v_add_f64 v[0:1], v[0:1], v[88:89]
	v_accvgpr_read_b32 v39, a99
	v_add_f64 v[42:43], v[158:159], -v[42:43]
	v_add_f64 v[32:33], v[62:63], v[32:33]
	v_add_f64 v[2:3], v[2:3], v[94:95]
	v_add_f64 v[0:1], v[0:1], v[92:93]
	;; [unrolled: 5-line block ×3, first 2 shown]
	v_lshlrev_b32_e32 v4, 4, v4
	v_add_f64 v[32:33], v[38:39], v[32:33]
	ds_write_b128 v4, v[0:3]
	ds_write_b128 v4, v[32:35] offset:16
	ds_write_b128 v4, v[56:59] offset:32
	ds_write_b128 v4, v[52:55] offset:48
	ds_write_b128 v4, v[48:51] offset:64
	ds_write_b128 v4, v[44:47] offset:80
	ds_write_b128 v4, v[28:31] offset:96
	ds_write_b128 v4, v[24:27] offset:112
	ds_write_b128 v4, a[72:75] offset:128
	ds_write_b128 v4, a[68:71] offset:144
	ds_write_b128 v4, a[64:67] offset:160
	ds_write_b128 v4, a[60:63] offset:176
	ds_write_b128 v4, a[56:59] offset:192
.LBB0_7:
	s_or_b64 exec, exec, s[48:49]
	v_accvgpr_read_b32 v191, a1
	s_movk_i32 s0, 0x4f
	v_accvgpr_read_b32 v190, a0
	v_mul_lo_u16_sdwa v0, v190, s0 dst_sel:DWORD dst_unused:UNUSED_PAD src0_sel:BYTE_0 src1_sel:DWORD
	v_lshrrev_b16_e32 v37, 10, v0
	v_mul_lo_u16_e32 v0, 13, v37
	v_sub_u16_e32 v0, v190, v0
	v_and_b32_e32 v64, 0xff, v0
	v_mul_u32_u24_e32 v0, 6, v64
	v_lshlrev_b32_e32 v0, 4, v0
	s_waitcnt lgkmcnt(0)
	s_barrier
	global_load_dwordx4 v[164:167], v0, s[2:3]
	global_load_dwordx4 v[160:163], v0, s[2:3] offset:16
	global_load_dwordx4 v[156:159], v0, s[2:3] offset:32
	;; [unrolled: 1-line block ×5, first 2 shown]
	v_mul_lo_u16_sdwa v0, v36, s0 dst_sel:DWORD dst_unused:UNUSED_PAD src0_sel:BYTE_0 src1_sel:DWORD
	v_lshrrev_b16_e32 v65, 10, v0
	v_mul_lo_u16_e32 v0, 13, v65
	v_sub_u16_e32 v0, v36, v0
	v_and_b32_e32 v66, 0xff, v0
	v_mul_u32_u24_e32 v0, 6, v66
	s_mov_b64 s[0:1], 0xb6
	v_lshlrev_b32_e32 v0, 4, v0
	s_movk_i32 s8, 0x4ec5
	v_lshl_add_u64 v[40:41], v[190:191], 0, s[0:1]
	global_load_dwordx4 v[122:125], v0, s[2:3]
	global_load_dwordx4 v[184:187], v0, s[2:3] offset:16
	global_load_dwordx4 v[180:183], v0, s[2:3] offset:32
	;; [unrolled: 1-line block ×5, first 2 shown]
	v_mul_u32_u24_sdwa v0, v40, s8 dst_sel:DWORD dst_unused:UNUSED_PAD src0_sel:WORD_0 src1_sel:DWORD
	v_lshrrev_b32_e32 v41, 18, v0
	v_mul_lo_u16_e32 v0, 13, v41
	v_sub_u16_e32 v67, v40, v0
	v_mul_lo_u16_e32 v0, 6, v67
	v_lshlrev_b32_e32 v0, 4, v0
	global_load_dwordx4 v[196:199], v0, s[2:3]
	global_load_dwordx4 v[192:195], v0, s[2:3] offset:16
	global_load_dwordx4 v[130:133], v0, s[2:3] offset:48
	global_load_dwordx4 v[142:145], v0, s[2:3] offset:32
	ds_read_b128 v[4:7], v108
	ds_read_b128 v[8:11], v108 offset:1456
	ds_read_b128 v[12:15], v108 offset:8736
	;; [unrolled: 1-line block ×5, first 2 shown]
	global_load_dwordx4 v[134:137], v0, s[2:3] offset:80
	global_load_dwordx4 v[146:149], v0, s[2:3] offset:64
	ds_read_b128 v[28:31], v108 offset:26208
	ds_read_b128 v[32:35], v108 offset:27664
	;; [unrolled: 1-line block ×15, first 2 shown]
	s_mov_b32 s8, 0x37e14327
	s_mov_b32 s0, 0x36b3c0b5
	;; [unrolled: 1-line block ×20, first 2 shown]
	v_mul_u32_u24_e32 v37, 0x5b, v37
	v_add_lshl_u32 v110, v37, v64, 4
	s_waitcnt lgkmcnt(0)
	s_barrier
	s_movk_i32 s30, 0x5b
	s_waitcnt vmcnt(17)
	v_mul_f64 v[38:39], v[44:45], v[166:167]
	s_waitcnt vmcnt(16)
	v_mul_f64 v[98:99], v[12:13], v[162:163]
	;; [unrolled: 2-line block ×6, first 2 shown]
	v_mul_f64 v[116:117], v[30:31], v[170:171]
	v_fmac_f64_e32 v[118:119], v[30:31], v[168:169]
	v_mul_f64 v[104:105], v[22:23], v[154:155]
	v_mul_f64 v[114:115], v[76:77], v[174:175]
	v_fmac_f64_e32 v[106:107], v[22:23], v[152:153]
	v_fma_f64 v[22:23], v[76:77], v[172:173], -v[112:113]
	v_mul_f64 v[62:63], v[14:15], v[162:163]
	s_waitcnt vmcnt(11)
	v_mul_f64 v[30:31], v[48:49], v[124:125]
	v_fma_f64 v[76:77], v[46:47], v[122:123], -v[30:31]
	s_waitcnt vmcnt(10)
	v_mul_f64 v[30:31], v[18:19], v[186:187]
	v_fmac_f64_e32 v[98:99], v[14:15], v[160:161]
	v_fma_f64 v[14:15], v[54:55], v[156:157], -v[100:101]
	v_fma_f64 v[20:21], v[20:21], v[152:153], -v[104:105]
	;; [unrolled: 1-line block ×3, first 2 shown]
	v_mul_f64 v[104:105], v[16:17], v[186:187]
	s_waitcnt vmcnt(9)
	v_mul_f64 v[16:17], v[70:71], v[182:183]
	v_fma_f64 v[112:113], v[68:69], v[180:181], -v[16:17]
	v_mul_f64 v[68:69], v[68:69], v[182:183]
	s_waitcnt vmcnt(8)
	v_mul_f64 v[16:17], v[26:27], v[178:179]
	v_fmac_f64_e32 v[114:115], v[78:79], v[172:173]
	v_mul_f64 v[78:79], v[46:47], v[124:125]
	v_accvgpr_write_b32 a94, v122
	v_fmac_f64_e32 v[68:69], v[70:71], v[180:181]
	v_fma_f64 v[70:71], v[24:25], v[176:177], -v[16:17]
	s_waitcnt vmcnt(6)
	v_mul_f64 v[16:17], v[86:87], v[140:141]
	v_accvgpr_write_b32 a95, v123
	v_accvgpr_write_b32 a96, v124
	;; [unrolled: 1-line block ×3, first 2 shown]
	v_fmac_f64_e32 v[78:79], v[48:49], v[122:123]
	v_fma_f64 v[122:123], v[84:85], v[138:139], -v[16:17]
	v_mul_f64 v[84:85], v[84:85], v[140:141]
	v_mul_f64 v[16:17], v[34:35], v[128:129]
	v_fmac_f64_e32 v[84:85], v[86:87], v[138:139]
	v_fma_f64 v[86:87], v[32:33], v[126:127], -v[16:17]
	s_waitcnt vmcnt(5)
	v_mul_f64 v[16:17], v[52:53], v[198:199]
	v_mul_f64 v[96:97], v[42:43], v[166:167]
	v_fma_f64 v[120:121], v[42:43], v[164:165], -v[38:39]
	v_fma_f64 v[38:39], v[50:51], v[196:197], -v[16:17]
	s_waitcnt vmcnt(4)
	v_mul_f64 v[16:17], v[60:61], v[194:195]
	v_fmac_f64_e32 v[96:97], v[44:45], v[164:165]
	v_fma_f64 v[44:45], v[58:59], v[192:193], -v[16:17]
	s_waitcnt vmcnt(2)
	v_mul_f64 v[16:17], v[74:75], v[144:145]
	v_mul_f64 v[42:43], v[50:51], v[198:199]
	v_fma_f64 v[48:49], v[72:73], v[142:143], -v[16:17]
	v_mul_f64 v[16:17], v[82:83], v[132:133]
	v_mul_f64 v[102:103], v[54:55], v[158:159]
	v_fmac_f64_e32 v[42:43], v[52:53], v[196:197]
	v_fma_f64 v[52:53], v[80:81], v[130:131], -v[16:17]
	s_waitcnt vmcnt(0)
	v_mul_f64 v[16:17], v[90:91], v[148:149]
	v_fma_f64 v[12:13], v[12:13], v[160:161], -v[62:63]
	v_fmac_f64_e32 v[102:103], v[56:57], v[156:157]
	v_fma_f64 v[28:29], v[28:29], v[168:169], -v[116:117]
	v_mul_f64 v[46:47], v[58:59], v[194:195]
	v_fma_f64 v[56:57], v[88:89], v[146:147], -v[16:17]
	v_mul_f64 v[16:17], v[94:95], v[136:137]
	v_mul_f64 v[116:117], v[24:25], v[178:179]
	v_fmac_f64_e32 v[46:47], v[60:61], v[192:193]
	v_fma_f64 v[60:61], v[92:93], v[134:135], -v[16:17]
	v_add_f64 v[16:17], v[120:121], v[28:29]
	v_add_f64 v[24:25], v[120:121], -v[28:29]
	v_add_f64 v[28:29], v[12:13], v[22:23]
	v_fmac_f64_e32 v[104:105], v[18:19], v[184:185]
	v_mul_f64 v[124:125], v[32:33], v[128:129]
	v_mul_f64 v[50:51], v[72:73], v[144:145]
	v_add_f64 v[18:19], v[96:97], v[118:119]
	v_add_f64 v[30:31], v[98:99], v[114:115]
	;; [unrolled: 1-line block ×4, first 2 shown]
	v_fmac_f64_e32 v[124:125], v[34:35], v[126:127]
	v_fmac_f64_e32 v[50:51], v[74:75], v[142:143]
	v_mul_f64 v[54:55], v[80:81], v[132:133]
	v_add_f64 v[34:35], v[102:103], v[106:107]
	v_add_f64 v[74:75], v[30:31], v[18:19]
	v_add_f64 v[80:81], v[28:29], -v[16:17]
	v_add_f64 v[16:17], v[16:17], -v[32:33]
	;; [unrolled: 1-line block ×3, first 2 shown]
	v_add_f64 v[32:33], v[32:33], v[72:73]
	v_fmac_f64_e32 v[54:55], v[82:83], v[130:131]
	v_mul_f64 v[58:59], v[88:89], v[148:149]
	v_mul_f64 v[62:63], v[92:93], v[136:137]
	v_add_f64 v[12:13], v[12:13], -v[22:23]
	v_add_f64 v[22:23], v[98:99], -v[114:115]
	;; [unrolled: 1-line block ×7, first 2 shown]
	v_add_f64 v[34:35], v[34:35], v[74:75]
	v_add_f64 v[4:5], v[4:5], v[32:33]
	v_fmac_f64_e32 v[116:117], v[26:27], v[176:177]
	v_fmac_f64_e32 v[58:59], v[90:91], v[146:147]
	;; [unrolled: 1-line block ×3, first 2 shown]
	v_add_f64 v[26:27], v[96:97], -v[118:119]
	v_add_f64 v[88:89], v[14:15], v[12:13]
	v_add_f64 v[90:91], v[20:21], v[22:23]
	v_add_f64 v[92:93], v[14:15], -v[12:13]
	v_add_f64 v[94:95], v[20:21], -v[22:23]
	v_add_f64 v[6:7], v[6:7], v[34:35]
	v_mov_b64_e32 v[96:97], v[4:5]
	v_add_f64 v[14:15], v[24:25], -v[14:15]
	v_add_f64 v[20:21], v[26:27], -v[20:21]
	;; [unrolled: 1-line block ×4, first 2 shown]
	v_add_f64 v[24:25], v[88:89], v[24:25]
	v_add_f64 v[26:27], v[90:91], v[26:27]
	v_mul_f64 v[16:17], v[16:17], s[8:9]
	v_mul_f64 v[18:19], v[18:19], s[8:9]
	;; [unrolled: 1-line block ×6, first 2 shown]
	v_fmac_f64_e32 v[96:97], s[18:19], v[32:33]
	v_mov_b64_e32 v[32:33], v[6:7]
	v_mul_f64 v[92:93], v[12:13], s[12:13]
	v_mul_f64 v[94:95], v[22:23], s[12:13]
	v_fmac_f64_e32 v[32:33], s[18:19], v[34:35]
	v_fma_f64 v[34:35], v[80:81], s[20:21], -v[72:73]
	v_fma_f64 v[72:73], v[82:83], s[20:21], -v[74:75]
	;; [unrolled: 1-line block ×3, first 2 shown]
	v_fmac_f64_e32 v[16:17], s[0:1], v[28:29]
	v_fma_f64 v[28:29], v[82:83], s[22:23], -v[18:19]
	v_fmac_f64_e32 v[18:19], s[0:1], v[30:31]
	v_fma_f64 v[30:31], v[12:13], s[12:13], -v[88:89]
	v_fma_f64 v[80:81], v[22:23], s[12:13], -v[90:91]
	v_fmac_f64_e32 v[88:89], s[24:25], v[14:15]
	v_fmac_f64_e32 v[90:91], s[24:25], v[20:21]
	v_fma_f64 v[82:83], v[14:15], s[28:29], -v[92:93]
	v_fma_f64 v[92:93], v[20:21], s[28:29], -v[94:95]
	v_add_f64 v[34:35], v[34:35], v[96:97]
	v_add_f64 v[72:73], v[72:73], v[32:33]
	v_fmac_f64_e32 v[30:31], s[26:27], v[24:25]
	v_fmac_f64_e32 v[80:81], s[26:27], v[26:27]
	v_add_f64 v[98:99], v[18:19], v[32:33]
	v_add_f64 v[74:75], v[74:75], v[96:97]
	;; [unrolled: 1-line block ×3, first 2 shown]
	v_fmac_f64_e32 v[88:89], s[26:27], v[24:25]
	v_fmac_f64_e32 v[90:91], s[26:27], v[26:27]
	;; [unrolled: 1-line block ×4, first 2 shown]
	v_add_f64 v[20:21], v[34:35], -v[80:81]
	v_add_f64 v[22:23], v[30:31], v[72:73]
	v_add_f64 v[24:25], v[80:81], v[34:35]
	v_add_f64 v[26:27], v[72:73], -v[30:31]
	v_add_f64 v[72:73], v[76:77], v[86:87]
	v_add_f64 v[80:81], v[100:101], v[122:123]
	;; [unrolled: 1-line block ×3, first 2 shown]
	v_add_f64 v[14:15], v[98:99], -v[88:89]
	v_add_f64 v[16:17], v[92:93], v[74:75]
	v_add_f64 v[18:19], v[32:33], -v[82:83]
	v_add_f64 v[28:29], v[74:75], -v[92:93]
	v_add_f64 v[30:31], v[82:83], v[32:33]
	v_add_f64 v[34:35], v[88:89], v[98:99]
	;; [unrolled: 1-line block ×7, first 2 shown]
	v_add_f64 v[32:33], v[94:95], -v[90:91]
	v_add_f64 v[90:91], v[68:69], v[116:117]
	v_add_f64 v[94:95], v[82:83], v[74:75]
	v_add_f64 v[96:97], v[80:81], -v[72:73]
	v_add_f64 v[72:73], v[72:73], -v[88:89]
	;; [unrolled: 1-line block ×3, first 2 shown]
	v_add_f64 v[88:89], v[88:89], v[92:93]
	v_add_f64 v[76:77], v[76:77], -v[86:87]
	v_add_f64 v[86:87], v[100:101], -v[122:123]
	;; [unrolled: 1-line block ×6, first 2 shown]
	v_add_f64 v[90:91], v[90:91], v[94:95]
	v_add_f64 v[8:9], v[8:9], v[88:89]
	v_add_f64 v[78:79], v[78:79], -v[124:125]
	v_add_f64 v[84:85], v[104:105], -v[84:85]
	;; [unrolled: 1-line block ×3, first 2 shown]
	v_add_f64 v[100:101], v[70:71], v[86:87]
	v_add_f64 v[104:105], v[70:71], -v[86:87]
	v_add_f64 v[10:11], v[10:11], v[90:91]
	v_mov_b64_e32 v[112:113], v[8:9]
	v_add_f64 v[102:103], v[68:69], v[84:85]
	v_add_f64 v[106:107], v[68:69], -v[84:85]
	v_add_f64 v[70:71], v[76:77], -v[70:71]
	;; [unrolled: 1-line block ×4, first 2 shown]
	v_add_f64 v[76:77], v[100:101], v[76:77]
	v_mul_f64 v[72:73], v[72:73], s[8:9]
	v_mul_f64 v[74:75], v[74:75], s[8:9]
	;; [unrolled: 1-line block ×5, first 2 shown]
	v_fmac_f64_e32 v[112:113], s[18:19], v[88:89]
	v_mov_b64_e32 v[88:89], v[10:11]
	v_add_f64 v[68:69], v[78:79], -v[68:69]
	v_add_f64 v[78:79], v[102:103], v[78:79]
	v_mul_f64 v[102:103], v[106:107], s[14:15]
	v_mul_f64 v[106:107], v[84:85], s[12:13]
	v_fmac_f64_e32 v[88:89], s[18:19], v[90:91]
	v_fma_f64 v[90:91], v[96:97], s[20:21], -v[92:93]
	v_fma_f64 v[92:93], v[98:99], s[20:21], -v[94:95]
	;; [unrolled: 1-line block ×3, first 2 shown]
	v_fmac_f64_e32 v[72:73], s[0:1], v[80:81]
	v_fma_f64 v[80:81], v[98:99], s[22:23], -v[74:75]
	v_fmac_f64_e32 v[74:75], s[0:1], v[82:83]
	v_fma_f64 v[82:83], v[86:87], s[12:13], -v[100:101]
	v_mul_f64 v[104:105], v[86:87], s[12:13]
	v_fma_f64 v[84:85], v[84:85], s[12:13], -v[102:103]
	v_fmac_f64_e32 v[102:103], s[24:25], v[68:69]
	v_fma_f64 v[96:97], v[68:69], s[28:29], -v[106:107]
	v_add_f64 v[92:93], v[92:93], v[88:89]
	v_fmac_f64_e32 v[82:83], s[26:27], v[76:77]
	v_fmac_f64_e32 v[100:101], s[24:25], v[70:71]
	v_fma_f64 v[86:87], v[70:71], s[28:29], -v[104:105]
	v_add_f64 v[90:91], v[90:91], v[112:113]
	v_add_f64 v[94:95], v[94:95], v[112:113]
	v_fmac_f64_e32 v[102:103], s[26:27], v[78:79]
	v_fmac_f64_e32 v[84:85], s[26:27], v[78:79]
	;; [unrolled: 1-line block ×3, first 2 shown]
	v_add_f64 v[78:79], v[82:83], v[92:93]
	v_add_f64 v[82:83], v[92:93], -v[82:83]
	v_add_f64 v[92:93], v[38:39], v[60:61]
	v_add_f64 v[38:39], v[38:39], -v[60:61]
	v_add_f64 v[60:61], v[44:45], v[56:57]
	v_add_f64 v[98:99], v[72:73], v[112:113]
	;; [unrolled: 1-line block ×4, first 2 shown]
	v_fmac_f64_e32 v[100:101], s[26:27], v[76:77]
	v_fmac_f64_e32 v[86:87], s[26:27], v[76:77]
	v_add_f64 v[72:73], v[96:97], v[94:95]
	v_add_f64 v[76:77], v[90:91], -v[84:85]
	v_add_f64 v[80:81], v[84:85], v[90:91]
	v_add_f64 v[84:85], v[94:95], -v[96:97]
	;; [unrolled: 2-line block ×7, first 2 shown]
	v_add_f64 v[54:55], v[62:63], v[94:95]
	v_add_f64 v[52:53], v[56:57], v[52:53]
	;; [unrolled: 1-line block ×5, first 2 shown]
	v_add_f64 v[70:71], v[104:105], -v[100:101]
	v_add_f64 v[74:75], v[88:89], -v[86:87]
	v_add_f64 v[86:87], v[86:87], v[88:89]
	v_add_f64 v[88:89], v[98:99], -v[102:103]
	v_add_f64 v[90:91], v[100:101], v[104:105]
	v_add_f64 v[96:97], v[60:61], -v[92:93]
	v_add_f64 v[98:99], v[62:63], -v[94:95]
	v_add_f64 v[92:93], v[92:93], -v[56:57]
	v_add_f64 v[94:95], v[94:95], -v[58:59]
	v_add_f64 v[60:61], v[56:57], -v[60:61]
	v_add_f64 v[62:63], v[58:59], -v[62:63]
	v_add_f64 v[100:101], v[48:49], v[44:45]
	v_add_f64 v[102:103], v[50:51], v[46:47]
	v_add_f64 v[104:105], v[48:49], -v[44:45]
	v_add_f64 v[106:107], v[50:51], -v[46:47]
	;; [unrolled: 1-line block ×4, first 2 shown]
	v_add_f64 v[2:3], v[2:3], v[54:55]
	v_mov_b64_e32 v[112:113], v[0:1]
	v_add_f64 v[48:49], v[38:39], -v[48:49]
	v_add_f64 v[50:51], v[42:43], -v[50:51]
	v_add_f64 v[38:39], v[100:101], v[38:39]
	v_add_f64 v[42:43], v[102:103], v[42:43]
	v_mul_f64 v[56:57], v[92:93], s[8:9]
	v_mul_f64 v[58:59], v[94:95], s[8:9]
	;; [unrolled: 1-line block ×8, first 2 shown]
	v_fmac_f64_e32 v[112:113], s[18:19], v[52:53]
	v_mov_b64_e32 v[52:53], v[2:3]
	ds_write_b128 v110, v[4:7]
	ds_write_b128 v110, v[12:15] offset:208
	ds_write_b128 v110, v[16:19] offset:416
	;; [unrolled: 1-line block ×6, first 2 shown]
	v_mul_u32_u24_e32 v4, 0x5b, v65
	v_fmac_f64_e32 v[52:53], s[18:19], v[54:55]
	v_fma_f64 v[54:55], v[96:97], s[20:21], -v[92:93]
	v_fma_f64 v[92:93], v[98:99], s[20:21], -v[94:95]
	;; [unrolled: 1-line block ×3, first 2 shown]
	v_fmac_f64_e32 v[56:57], s[0:1], v[60:61]
	v_fma_f64 v[60:61], v[98:99], s[22:23], -v[58:59]
	v_fmac_f64_e32 v[58:59], s[0:1], v[62:63]
	v_fma_f64 v[62:63], v[44:45], s[12:13], -v[100:101]
	;; [unrolled: 2-line block ×4, first 2 shown]
	v_fma_f64 v[104:105], v[50:51], s[28:29], -v[106:107]
	v_add_lshl_u32 v111, v4, v66, 4
	v_mad_legacy_u16 v4, v41, s30, v67
	v_add_f64 v[106:107], v[56:57], v[112:113]
	v_add_f64 v[114:115], v[58:59], v[52:53]
	;; [unrolled: 1-line block ×6, first 2 shown]
	v_fmac_f64_e32 v[100:101], s[26:27], v[38:39]
	v_fmac_f64_e32 v[102:103], s[26:27], v[42:43]
	;; [unrolled: 1-line block ×6, first 2 shown]
	v_lshlrev_b32_e32 v191, 4, v4
	v_add_f64 v[42:43], v[102:103], v[106:107]
	v_add_f64 v[44:45], v[114:115], -v[100:101]
	v_add_f64 v[46:47], v[104:105], v[58:59]
	v_add_f64 v[48:49], v[60:61], -v[98:99]
	v_add_f64 v[50:51], v[54:55], -v[96:97]
	v_add_f64 v[52:53], v[62:63], v[56:57]
	v_add_f64 v[54:55], v[96:97], v[54:55]
	v_add_f64 v[56:57], v[56:57], -v[62:63]
	v_add_f64 v[58:59], v[58:59], -v[104:105]
	v_add_f64 v[60:61], v[98:99], v[60:61]
	v_add_f64 v[92:93], v[106:107], -v[102:103]
	v_add_f64 v[94:95], v[100:101], v[114:115]
	ds_write_b128 v111, v[8:11]
	ds_write_b128 v111, v[68:71] offset:208
	ds_write_b128 v111, v[72:75] offset:416
	ds_write_b128 v111, v[76:79] offset:624
	ds_write_b128 v111, v[80:83] offset:832
	ds_write_b128 v111, v[84:87] offset:1040
	ds_write_b128 v111, v[88:91] offset:1248
	ds_write_b128 v191, v[0:3]
	ds_write_b128 v191, v[42:45] offset:208
	ds_write_b128 v191, v[46:49] offset:416
	;; [unrolled: 1-line block ×6, first 2 shown]
	s_movk_i32 s30, 0x60
	v_mov_b64_e32 v[0:1], s[2:3]
	v_mad_u64_u32 v[0:1], s[30:31], v190, s30, v[0:1]
	v_lshlrev_b32_e32 v42, 4, v190
	v_mov_b32_e32 v43, 0
	s_waitcnt lgkmcnt(0)
	s_barrier
	global_load_dwordx4 v[120:123], v[0:1], off offset:1248
	global_load_dwordx4 v[112:115], v[0:1], off offset:1264
	;; [unrolled: 1-line block ×6, first 2 shown]
	v_lshl_add_u64 v[38:39], s[16:17], 0, v[42:43]
	s_movk_i32 s16, 0x6817
	v_mul_u32_u24_sdwa v0, v40, s16 dst_sel:DWORD dst_unused:UNUSED_PAD src0_sel:WORD_0 src1_sel:DWORD
	v_sub_u16_sdwa v1, v40, v0 dst_sel:DWORD dst_unused:UNUSED_PAD src0_sel:DWORD src1_sel:WORD_1
	v_lshrrev_b16_e32 v1, 1, v1
	v_add_u16_sdwa v0, v1, v0 dst_sel:DWORD dst_unused:UNUSED_PAD src0_sel:DWORD src1_sel:WORD_1
	v_lshrrev_b16_e32 v0, 6, v0
	v_mul_lo_u16_e32 v0, 0x5b, v0
	v_sub_u16_e32 v37, v40, v0
	v_mul_lo_u16_e32 v42, 0x60, v37
	v_accvgpr_write_b32 a134, v146
	v_lshl_add_u64 v[0:1], s[2:3], 0, v[42:43]
	v_accvgpr_write_b32 a126, v138
	v_accvgpr_write_b32 a130, v142
	;; [unrolled: 1-line block ×5, first 2 shown]
	global_load_dwordx4 v[200:203], v[0:1], off offset:1248
	global_load_dwordx4 v[148:151], v[0:1], off offset:1264
	v_accvgpr_write_b32 a127, v139
	v_accvgpr_write_b32 a128, v140
	;; [unrolled: 1-line block ×6, first 2 shown]
	global_load_dwordx4 v[140:143], v[0:1], off offset:1296
	global_load_dwordx4 v[144:147], v[0:1], off offset:1280
	ds_read_b128 v[4:7], v108
	ds_read_b128 v[8:11], v108 offset:1456
	ds_read_b128 v[12:15], v108 offset:8736
	;; [unrolled: 1-line block ×5, first 2 shown]
	global_load_dwordx4 v[204:207], v[0:1], off offset:1328
	global_load_dwordx4 v[208:211], v[0:1], off offset:1312
	ds_read_b128 v[28:31], v108 offset:26208
	ds_read_b128 v[32:35], v108 offset:27664
	;; [unrolled: 1-line block ×15, first 2 shown]
	v_accvgpr_write_b32 a114, v126
	v_accvgpr_write_b32 a115, v127
	;; [unrolled: 1-line block ×20, first 2 shown]
	v_lshlrev_b32_e32 v44, 5, v190
	v_lshlrev_b32_e32 v188, 4, v37
	v_mov_b32_e32 v45, v43
	s_waitcnt lgkmcnt(0)
	s_barrier
	v_lshlrev_b32_e32 v42, 5, v36
	s_waitcnt vmcnt(11)
	v_mul_f64 v[70:71], v[48:49], v[122:123]
	v_fma_f64 v[70:71], v[46:47], v[120:121], -v[70:71]
	v_mul_f64 v[124:125], v[46:47], v[122:123]
	s_waitcnt vmcnt(10)
	v_mul_f64 v[46:47], v[14:15], v[114:115]
	v_fma_f64 v[126:127], v[12:13], v[112:113], -v[46:47]
	s_waitcnt vmcnt(8)
	v_mul_f64 v[46:47], v[22:23], v[74:75]
	v_fma_f64 v[130:131], v[20:21], v[72:73], -v[46:47]
	v_mul_f64 v[20:21], v[20:21], v[74:75]
	v_fmac_f64_e32 v[20:21], v[22:23], v[72:73]
	s_waitcnt vmcnt(7)
	v_mul_f64 v[22:23], v[82:83], v[106:107]
	v_fma_f64 v[22:23], v[80:81], v[104:105], -v[22:23]
	v_mul_f64 v[80:81], v[80:81], v[106:107]
	s_waitcnt vmcnt(6)
	v_mul_f64 v[46:47], v[30:31], v[98:99]
	v_fmac_f64_e32 v[80:81], v[82:83], v[104:105]
	v_fma_f64 v[82:83], v[28:29], v[96:97], -v[46:47]
	v_mul_f64 v[28:29], v[28:29], v[98:99]
	v_fmac_f64_e32 v[28:29], v[30:31], v[96:97]
	v_mul_f64 v[30:31], v[52:53], v[122:123]
	v_fma_f64 v[132:133], v[50:51], v[120:121], -v[30:31]
	v_mul_f64 v[30:31], v[18:19], v[114:115]
	v_fma_f64 v[136:137], v[16:17], v[112:113], -v[30:31]
	v_mul_f64 v[138:139], v[16:17], v[114:115]
	v_mul_f64 v[16:17], v[68:69], v[86:87]
	v_fma_f64 v[192:193], v[66:67], v[84:85], -v[16:17]
	v_mul_f64 v[66:67], v[66:67], v[86:87]
	v_mul_f64 v[16:17], v[26:27], v[74:75]
	v_fmac_f64_e32 v[66:67], v[68:69], v[84:85]
	v_fma_f64 v[68:69], v[24:25], v[72:73], -v[16:17]
	v_mul_f64 v[16:17], v[94:95], v[106:107]
	v_fma_f64 v[196:197], v[92:93], v[104:105], -v[16:17]
	v_mul_f64 v[92:93], v[92:93], v[106:107]
	v_mul_f64 v[16:17], v[34:35], v[98:99]
	v_fmac_f64_e32 v[92:93], v[94:95], v[104:105]
	v_fma_f64 v[94:95], v[32:33], v[96:97], -v[16:17]
	s_waitcnt vmcnt(5)
	v_mul_f64 v[16:17], v[56:57], v[202:203]
	v_fma_f64 v[46:47], v[54:55], v[200:201], -v[16:17]
	s_waitcnt vmcnt(4)
	v_mul_f64 v[16:17], v[64:65], v[150:151]
	v_mul_f64 v[12:13], v[12:13], v[114:115]
	v_mul_f64 v[134:135], v[50:51], v[122:123]
	v_fma_f64 v[50:51], v[62:63], v[148:149], -v[16:17]
	s_waitcnt vmcnt(2)
	v_mul_f64 v[16:17], v[78:79], v[146:147]
	v_fmac_f64_e32 v[124:125], v[48:49], v[120:121]
	v_fmac_f64_e32 v[12:13], v[14:15], v[112:113]
	v_mul_f64 v[14:15], v[60:61], v[86:87]
	v_mul_f64 v[48:49], v[54:55], v[202:203]
	v_fma_f64 v[54:55], v[76:77], v[144:145], -v[16:17]
	v_mul_f64 v[16:17], v[90:91], v[142:143]
	v_fma_f64 v[14:15], v[58:59], v[84:85], -v[14:15]
	v_mul_f64 v[128:129], v[58:59], v[86:87]
	v_accvgpr_write_b32 a110, v200
	v_fma_f64 v[58:59], v[88:89], v[140:141], -v[16:17]
	s_waitcnt vmcnt(0)
	v_mul_f64 v[16:17], v[102:103], v[210:211]
	v_mul_f64 v[194:195], v[24:25], v[74:75]
	v_accvgpr_write_b32 a111, v201
	v_accvgpr_write_b32 a112, v202
	;; [unrolled: 1-line block ×3, first 2 shown]
	v_fmac_f64_e32 v[48:49], v[56:57], v[200:201]
	v_fma_f64 v[200:201], v[100:101], v[208:209], -v[16:17]
	v_mul_f64 v[100:101], v[100:101], v[210:211]
	v_mul_f64 v[16:17], v[118:119], v[206:207]
	v_fmac_f64_e32 v[138:139], v[18:19], v[112:113]
	v_fmac_f64_e32 v[194:195], v[26:27], v[72:73]
	;; [unrolled: 1-line block ×3, first 2 shown]
	v_fma_f64 v[102:103], v[116:117], v[204:205], -v[16:17]
	v_add_f64 v[16:17], v[70:71], v[82:83]
	v_add_f64 v[18:19], v[124:125], v[28:29]
	v_add_f64 v[26:27], v[124:125], -v[28:29]
	v_add_f64 v[28:29], v[126:127], v[22:23]
	v_fmac_f64_e32 v[128:129], v[60:61], v[84:85]
	v_fmac_f64_e32 v[134:135], v[52:53], v[120:121]
	v_mul_f64 v[198:199], v[32:33], v[98:99]
	v_mul_f64 v[52:53], v[62:63], v[150:151]
	v_add_f64 v[30:31], v[12:13], v[80:81]
	v_add_f64 v[32:33], v[14:15], v[130:131]
	;; [unrolled: 1-line block ×3, first 2 shown]
	v_fmac_f64_e32 v[198:199], v[34:35], v[96:97]
	v_fmac_f64_e32 v[52:53], v[64:65], v[148:149]
	v_add_f64 v[24:25], v[70:71], -v[82:83]
	v_add_f64 v[34:35], v[128:129], v[20:21]
	v_add_f64 v[64:65], v[30:31], v[18:19]
	v_add_f64 v[70:71], v[28:29], -v[16:17]
	v_add_f64 v[16:17], v[16:17], -v[32:33]
	v_add_f64 v[28:29], v[32:33], -v[28:29]
	v_add_f64 v[32:33], v[32:33], v[62:63]
	v_mul_f64 v[56:57], v[76:77], v[146:147]
	v_mul_f64 v[60:61], v[88:89], v[142:143]
	v_add_f64 v[22:23], v[126:127], -v[22:23]
	v_add_f64 v[12:13], v[12:13], -v[80:81]
	;; [unrolled: 1-line block ×7, first 2 shown]
	v_add_f64 v[34:35], v[34:35], v[64:65]
	v_add_f64 v[4:5], v[4:5], v[32:33]
	v_fmac_f64_e32 v[56:57], v[78:79], v[144:145]
	v_fmac_f64_e32 v[60:61], v[90:91], v[140:141]
	v_add_f64 v[78:79], v[14:15], v[22:23]
	v_add_f64 v[80:81], v[20:21], v[12:13]
	v_add_f64 v[82:83], v[14:15], -v[22:23]
	v_add_f64 v[88:89], v[20:21], -v[12:13]
	v_add_f64 v[6:7], v[6:7], v[34:35]
	v_mov_b64_e32 v[90:91], v[4:5]
	v_add_f64 v[14:15], v[24:25], -v[14:15]
	v_add_f64 v[20:21], v[26:27], -v[20:21]
	;; [unrolled: 1-line block ×4, first 2 shown]
	v_add_f64 v[24:25], v[78:79], v[24:25]
	v_add_f64 v[26:27], v[80:81], v[26:27]
	v_mul_f64 v[16:17], v[16:17], s[8:9]
	v_mul_f64 v[18:19], v[18:19], s[8:9]
	;; [unrolled: 1-line block ×6, first 2 shown]
	v_fmac_f64_e32 v[90:91], s[18:19], v[32:33]
	v_mov_b64_e32 v[32:33], v[6:7]
	v_mul_f64 v[116:117], v[116:117], v[206:207]
	v_mul_f64 v[82:83], v[22:23], s[12:13]
	;; [unrolled: 1-line block ×3, first 2 shown]
	v_fmac_f64_e32 v[32:33], s[18:19], v[34:35]
	v_fma_f64 v[34:35], v[70:71], s[20:21], -v[62:63]
	v_fma_f64 v[62:63], v[76:77], s[20:21], -v[64:65]
	;; [unrolled: 1-line block ×3, first 2 shown]
	v_fmac_f64_e32 v[16:17], s[0:1], v[28:29]
	v_fma_f64 v[28:29], v[76:77], s[22:23], -v[18:19]
	v_fmac_f64_e32 v[18:19], s[0:1], v[30:31]
	v_fma_f64 v[30:31], v[22:23], s[12:13], -v[78:79]
	;; [unrolled: 2-line block ×3, first 2 shown]
	v_fmac_f64_e32 v[116:117], v[118:119], v[204:205]
	v_fmac_f64_e32 v[80:81], s[24:25], v[20:21]
	v_fma_f64 v[76:77], v[14:15], s[28:29], -v[82:83]
	v_fma_f64 v[82:83], v[20:21], s[28:29], -v[88:89]
	v_add_f64 v[118:119], v[18:19], v[32:33]
	v_add_f64 v[34:35], v[34:35], v[90:91]
	;; [unrolled: 1-line block ×3, first 2 shown]
	v_fmac_f64_e32 v[78:79], s[26:27], v[24:25]
	v_fmac_f64_e32 v[30:31], s[26:27], v[24:25]
	;; [unrolled: 1-line block ×3, first 2 shown]
	v_add_f64 v[88:89], v[16:17], v[90:91]
	v_add_f64 v[64:65], v[64:65], v[90:91]
	;; [unrolled: 1-line block ×3, first 2 shown]
	v_fmac_f64_e32 v[80:81], s[26:27], v[26:27]
	v_fmac_f64_e32 v[76:77], s[26:27], v[24:25]
	;; [unrolled: 1-line block ×3, first 2 shown]
	v_add_f64 v[14:15], v[118:119], -v[78:79]
	v_add_f64 v[20:21], v[34:35], -v[70:71]
	v_add_f64 v[22:23], v[30:31], v[62:63]
	v_add_f64 v[24:25], v[70:71], v[34:35]
	v_add_f64 v[26:27], v[62:63], -v[30:31]
	v_add_f64 v[34:35], v[78:79], v[118:119]
	v_add_f64 v[62:63], v[132:133], v[94:95]
	;; [unrolled: 1-line block ×5, first 2 shown]
	v_add_f64 v[18:19], v[32:33], -v[76:77]
	v_add_f64 v[28:29], v[64:65], -v[82:83]
	v_add_f64 v[30:31], v[76:77], v[32:33]
	v_add_f64 v[32:33], v[88:89], -v[80:81]
	v_add_f64 v[64:65], v[134:135], v[198:199]
	;; [unrolled: 2-line block ×3, first 2 shown]
	v_add_f64 v[90:91], v[192:193], v[68:69]
	v_add_f64 v[94:95], v[78:79], v[62:63]
	v_add_f64 v[88:89], v[138:139], -v[92:93]
	v_add_f64 v[92:93], v[66:67], v[194:195]
	v_add_f64 v[118:119], v[80:81], v[64:65]
	v_add_f64 v[124:125], v[78:79], -v[62:63]
	v_add_f64 v[62:63], v[62:63], -v[90:91]
	;; [unrolled: 1-line block ×3, first 2 shown]
	v_add_f64 v[90:91], v[90:91], v[94:95]
	v_add_f64 v[76:77], v[134:135], -v[198:199]
	v_add_f64 v[82:83], v[136:137], -v[196:197]
	;; [unrolled: 1-line block ×7, first 2 shown]
	v_add_f64 v[92:93], v[92:93], v[118:119]
	v_add_f64 v[8:9], v[8:9], v[90:91]
	;; [unrolled: 1-line block ×4, first 2 shown]
	v_add_f64 v[132:133], v[68:69], -v[82:83]
	v_add_f64 v[134:135], v[66:67], -v[88:89]
	;; [unrolled: 1-line block ×4, first 2 shown]
	v_add_f64 v[10:11], v[10:11], v[92:93]
	v_mov_b64_e32 v[136:137], v[8:9]
	v_add_f64 v[68:69], v[70:71], -v[68:69]
	v_add_f64 v[66:67], v[76:77], -v[66:67]
	v_add_f64 v[70:71], v[128:129], v[70:71]
	v_add_f64 v[76:77], v[130:131], v[76:77]
	v_mul_f64 v[62:63], v[62:63], s[8:9]
	v_mul_f64 v[64:65], v[64:65], s[8:9]
	;; [unrolled: 1-line block ×8, first 2 shown]
	v_fmac_f64_e32 v[136:137], s[18:19], v[90:91]
	v_mov_b64_e32 v[90:91], v[10:11]
	v_fmac_f64_e32 v[90:91], s[18:19], v[92:93]
	v_fma_f64 v[92:93], v[124:125], s[20:21], -v[94:95]
	v_fma_f64 v[94:95], v[126:127], s[20:21], -v[118:119]
	;; [unrolled: 1-line block ×3, first 2 shown]
	v_fmac_f64_e32 v[62:63], s[0:1], v[78:79]
	v_fma_f64 v[78:79], v[126:127], s[22:23], -v[64:65]
	v_fmac_f64_e32 v[64:65], s[0:1], v[80:81]
	v_fma_f64 v[82:83], v[82:83], s[12:13], -v[128:129]
	;; [unrolled: 2-line block ×3, first 2 shown]
	v_fma_f64 v[124:125], v[68:69], s[28:29], -v[132:133]
	v_fma_f64 v[88:89], v[66:67], s[28:29], -v[134:135]
	v_add_f64 v[118:119], v[118:119], v[136:137]
	v_fmac_f64_e32 v[128:129], s[26:27], v[70:71]
	v_fmac_f64_e32 v[82:83], s[26:27], v[70:71]
	v_fmac_f64_e32 v[124:125], s[26:27], v[70:71]
	v_fmac_f64_e32 v[88:89], s[26:27], v[76:77]
	v_add_f64 v[70:71], v[46:47], v[102:103]
	v_add_f64 v[46:47], v[46:47], -v[102:103]
	v_add_f64 v[102:103], v[50:51], v[200:201]
	v_fmac_f64_e32 v[130:131], s[24:25], v[66:67]
	v_add_f64 v[132:133], v[64:65], v[90:91]
	v_add_f64 v[94:95], v[94:95], v[90:91]
	;; [unrolled: 1-line block ×4, first 2 shown]
	v_add_f64 v[88:89], v[118:119], -v[88:89]
	v_add_f64 v[118:119], v[48:49], v[116:117]
	v_add_f64 v[48:49], v[48:49], -v[116:117]
	v_add_f64 v[116:117], v[52:53], v[100:101]
	v_add_f64 v[52:53], v[52:53], -v[100:101]
	v_add_f64 v[100:101], v[54:55], v[58:59]
	v_add_f64 v[54:55], v[58:59], -v[54:55]
	v_add_f64 v[58:59], v[102:103], v[70:71]
	v_add_f64 v[68:69], v[90:91], -v[124:125]
	v_add_f64 v[90:91], v[124:125], v[90:91]
	v_add_f64 v[124:125], v[56:57], v[60:61]
	v_add_f64 v[56:57], v[60:61], -v[56:57]
	v_add_f64 v[60:61], v[116:117], v[118:119]
	v_add_f64 v[58:59], v[100:101], v[58:59]
	;; [unrolled: 1-line block ×4, first 2 shown]
	v_fmac_f64_e32 v[130:131], s[26:27], v[76:77]
	v_fmac_f64_e32 v[80:81], s[26:27], v[76:77]
	v_add_f64 v[50:51], v[50:51], -v[200:201]
	v_add_f64 v[60:61], v[124:125], v[60:61]
	v_add_f64 v[0:1], v[0:1], v[58:59]
	;; [unrolled: 1-line block ×3, first 2 shown]
	v_add_f64 v[64:65], v[132:133], -v[128:129]
	v_add_f64 v[76:77], v[92:93], -v[80:81]
	v_add_f64 v[78:79], v[82:83], v[94:95]
	v_add_f64 v[80:81], v[80:81], v[92:93]
	v_add_f64 v[82:83], v[94:95], -v[82:83]
	v_add_f64 v[92:93], v[126:127], -v[130:131]
	v_add_f64 v[94:95], v[128:129], v[132:133]
	v_add_f64 v[126:127], v[102:103], -v[70:71]
	v_add_f64 v[128:129], v[116:117], -v[118:119]
	;; [unrolled: 1-line block ×6, first 2 shown]
	v_add_f64 v[130:131], v[54:55], v[50:51]
	v_add_f64 v[132:133], v[56:57], v[52:53]
	v_add_f64 v[134:135], v[54:55], -v[50:51]
	v_add_f64 v[136:137], v[56:57], -v[52:53]
	;; [unrolled: 1-line block ×4, first 2 shown]
	v_add_f64 v[2:3], v[2:3], v[60:61]
	v_mov_b64_e32 v[138:139], v[0:1]
	v_add_f64 v[54:55], v[46:47], -v[54:55]
	v_add_f64 v[56:57], v[48:49], -v[56:57]
	v_add_f64 v[46:47], v[130:131], v[46:47]
	v_add_f64 v[48:49], v[132:133], v[48:49]
	v_mul_f64 v[70:71], v[70:71], s[8:9]
	v_mul_f64 v[100:101], v[118:119], s[8:9]
	;; [unrolled: 1-line block ×8, first 2 shown]
	v_fmac_f64_e32 v[138:139], s[18:19], v[58:59]
	v_mov_b64_e32 v[58:59], v[2:3]
	v_fmac_f64_e32 v[58:59], s[18:19], v[60:61]
	v_fma_f64 v[60:61], s[0:1], v[102:103], v[70:71]
	v_fma_f64 v[102:103], v[126:127], s[20:21], -v[118:119]
	v_fma_f64 v[118:119], v[128:129], s[20:21], -v[124:125]
	;; [unrolled: 1-line block ×4, first 2 shown]
	v_fmac_f64_e32 v[100:101], s[0:1], v[116:117]
	v_fma_f64 v[126:127], s[24:25], v[54:55], v[130:131]
	v_fma_f64 v[116:117], v[50:51], s[12:13], -v[130:131]
	v_fma_f64 v[128:129], v[52:53], s[12:13], -v[132:133]
	v_fmac_f64_e32 v[132:133], s[24:25], v[56:57]
	v_fma_f64 v[130:131], v[54:55], s[28:29], -v[134:135]
	v_fma_f64 v[134:135], v[56:57], s[28:29], -v[136:137]
	v_add_f64 v[136:137], v[60:61], v[138:139]
	v_add_f64 v[192:193], v[100:101], v[58:59]
	;; [unrolled: 1-line block ×6, first 2 shown]
	v_fmac_f64_e32 v[126:127], s[26:27], v[46:47]
	v_fmac_f64_e32 v[132:133], s[26:27], v[48:49]
	;; [unrolled: 1-line block ×6, first 2 shown]
	v_add_f64 v[46:47], v[132:133], v[136:137]
	v_add_f64 v[48:49], v[192:193], -v[126:127]
	v_add_f64 v[50:51], v[134:135], v[70:71]
	v_add_f64 v[52:53], v[102:103], -v[130:131]
	v_add_f64 v[54:55], v[60:61], -v[128:129]
	v_add_f64 v[56:57], v[116:117], v[100:101]
	v_add_f64 v[58:59], v[128:129], v[60:61]
	v_add_f64 v[60:61], v[100:101], -v[116:117]
	v_add_f64 v[100:101], v[70:71], -v[134:135]
	v_add_f64 v[102:103], v[130:131], v[102:103]
	v_add_f64 v[116:117], v[136:137], -v[132:133]
	v_add_f64 v[118:119], v[126:127], v[192:193]
	ds_write_b128 v108, v[4:7]
	ds_write_b128 v108, v[12:15] offset:1456
	ds_write_b128 v108, v[16:19] offset:2912
	;; [unrolled: 1-line block ×20, first 2 shown]
	v_lshl_add_u64 v[0:1], s[2:3], 0, v[44:45]
	s_mov_b64 s[8:9], 0x2700
	s_movk_i32 s12, 0x2000
	v_lshl_add_u64 v[2:3], v[0:1], 0, s[8:9]
	v_add_co_u32_e64 v0, s[0:1], s12, v0
	s_waitcnt lgkmcnt(0)
	s_nop 0
	v_addc_co_u32_e64 v1, s[0:1], 0, v1, s[0:1]
	s_barrier
	global_load_dwordx4 v[192:195], v[0:1], off offset:1792
	global_load_dwordx4 v[196:199], v[2:3], off offset:16
	v_lshl_add_u64 v[0:1], s[2:3], 0, v[42:43]
	v_lshl_add_u64 v[2:3], v[0:1], 0, s[8:9]
	v_add_co_u32_e64 v0, s[0:1], s12, v0
	v_accvgpr_write_b32 a146, v204
	s_nop 0
	v_addc_co_u32_e64 v1, s[0:1], 0, v1, s[0:1]
	v_lshlrev_b32_e32 v42, 5, v40
	v_accvgpr_write_b32 a147, v205
	v_accvgpr_write_b32 a148, v206
	;; [unrolled: 1-line block ×3, first 2 shown]
	global_load_dwordx4 v[200:203], v[0:1], off offset:1792
	global_load_dwordx4 v[204:207], v[2:3], off offset:16
	v_lshl_add_u64 v[0:1], s[2:3], 0, v[42:43]
	v_lshl_add_u64 v[2:3], v[0:1], 0, s[8:9]
	v_add_co_u32_e64 v0, s[0:1], s12, v0
	v_accvgpr_write_b32 a150, v208
	s_nop 0
	v_addc_co_u32_e64 v1, s[0:1], 0, v1, s[0:1]
	v_add_u32_e32 v42, 0x2220, v44
	v_accvgpr_write_b32 a151, v209
	v_accvgpr_write_b32 a152, v210
	;; [unrolled: 1-line block ×3, first 2 shown]
	global_load_dwordx4 v[208:211], v[0:1], off offset:1792
	global_load_dwordx4 v[212:215], v[2:3], off offset:16
	v_lshl_add_u64 v[0:1], s[2:3], 0, v[42:43]
	v_lshl_add_u64 v[2:3], v[0:1], 0, s[8:9]
	v_add_co_u32_e64 v0, s[0:1], s12, v0
	v_add_u32_e32 v42, 0x2d80, v44
	s_nop 0
	v_addc_co_u32_e64 v1, s[0:1], 0, v1, s[0:1]
	global_load_dwordx4 v[216:219], v[0:1], off offset:1792
	global_load_dwordx4 v[220:223], v[2:3], off offset:16
	v_lshl_add_u64 v[0:1], s[2:3], 0, v[42:43]
	v_lshl_add_u64 v[2:3], v[0:1], 0, s[8:9]
	v_add_co_u32_e64 v0, s[0:1], s12, v0
	v_add_u32_e32 v42, 0x38e0, v44
	s_nop 0
	v_addc_co_u32_e64 v1, s[0:1], 0, v1, s[0:1]
	;; [unrolled: 8-line block ×3, first 2 shown]
	global_load_dwordx4 v[232:235], v[0:1], off offset:1792
	global_load_dwordx4 v[236:239], v[2:3], off offset:16
	v_lshl_add_u64 v[0:1], s[2:3], 0, v[42:43]
	v_add_co_u32_e64 v2, s[0:1], s12, v0
	s_mov_b32 s3, 0xbfebb67a
	s_nop 0
	v_addc_co_u32_e64 v3, s[0:1], 0, v1, s[0:1]
	global_load_dwordx4 v[240:243], v[2:3], off offset:1792
	v_lshl_add_u64 v[0:1], v[0:1], 0, s[8:9]
	global_load_dwordx4 v[244:247], v[0:1], off offset:16
	ds_read_b128 v[0:3], v108 offset:20384
	ds_read_b128 v[4:7], v108 offset:21840
	;; [unrolled: 1-line block ×15, first 2 shown]
	s_mov_b32 s0, 0xe8584caa
	s_mov_b32 s1, 0x3febb67a
	;; [unrolled: 1-line block ×3, first 2 shown]
	s_movk_i32 s8, 0x7000
	v_accvgpr_write_b32 a106, v148
	v_accvgpr_write_b32 a102, v144
	v_accvgpr_write_b32 a98, v140
	v_accvgpr_write_b32 a107, v149
	v_accvgpr_write_b32 a108, v150
	v_accvgpr_write_b32 a109, v151
	v_accvgpr_write_b32 a103, v145
	v_accvgpr_write_b32 a104, v146
	v_accvgpr_write_b32 a105, v147
	v_accvgpr_write_b32 a99, v141
	v_accvgpr_write_b32 a100, v142
	v_accvgpr_write_b32 a101, v143
	s_waitcnt vmcnt(13) lgkmcnt(4)
	v_mul_f64 v[36:37], v[42:43], v[194:195]
	v_fma_f64 v[56:57], v[40:41], v[192:193], -v[36:37]
	s_waitcnt vmcnt(12)
	v_mul_f64 v[36:37], v[2:3], v[198:199]
	v_fma_f64 v[62:63], v[0:1], v[196:197], -v[36:37]
	v_mul_f64 v[64:65], v[0:1], v[198:199]
	v_mul_f64 v[60:61], v[40:41], v[194:195]
	v_fmac_f64_e32 v[60:61], v[42:43], v[192:193]
	v_fmac_f64_e32 v[64:65], v[2:3], v[196:197]
	s_waitcnt vmcnt(11)
	v_mul_f64 v[0:1], v[10:11], v[202:203]
	v_fma_f64 v[50:51], v[8:9], v[200:201], -v[0:1]
	s_waitcnt vmcnt(10)
	v_mul_f64 v[0:1], v[6:7], v[206:207]
	v_fma_f64 v[54:55], v[4:5], v[204:205], -v[0:1]
	v_mul_f64 v[58:59], v[4:5], v[206:207]
	v_mul_f64 v[52:53], v[8:9], v[202:203]
	v_fmac_f64_e32 v[52:53], v[10:11], v[200:201]
	v_fmac_f64_e32 v[58:59], v[6:7], v[204:205]
	s_waitcnt vmcnt(9)
	v_mul_f64 v[0:1], v[14:15], v[210:211]
	v_fma_f64 v[40:41], v[12:13], v[208:209], -v[0:1]
	s_waitcnt vmcnt(8)
	v_mul_f64 v[0:1], v[18:19], v[214:215]
	v_fma_f64 v[46:47], v[16:17], v[212:213], -v[0:1]
	v_mul_f64 v[44:45], v[12:13], v[210:211]
	v_fmac_f64_e32 v[44:45], v[14:15], v[208:209]
	v_mul_f64 v[48:49], v[16:17], v[214:215]
	v_fmac_f64_e32 v[48:49], v[18:19], v[212:213]
	s_waitcnt vmcnt(7)
	v_mul_f64 v[0:1], v[26:27], v[218:219]
	v_fma_f64 v[4:5], v[24:25], v[216:217], -v[0:1]
	s_waitcnt vmcnt(6)
	v_mul_f64 v[0:1], v[22:23], v[222:223]
	v_fma_f64 v[36:37], v[20:21], v[220:221], -v[0:1]
	v_mul_f64 v[42:43], v[20:21], v[222:223]
	v_mul_f64 v[6:7], v[24:25], v[218:219]
	v_fmac_f64_e32 v[42:43], v[22:23], v[220:221]
	v_fmac_f64_e32 v[6:7], v[26:27], v[216:217]
	s_waitcnt vmcnt(5)
	v_mul_f64 v[0:1], v[30:31], v[226:227]
	v_fma_f64 v[8:9], v[28:29], v[224:225], -v[0:1]
	s_waitcnt vmcnt(4)
	v_mul_f64 v[0:1], v[34:35], v[230:231]
	v_fma_f64 v[12:13], v[32:33], v[228:229], -v[0:1]
	v_mul_f64 v[10:11], v[28:29], v[226:227]
	v_fmac_f64_e32 v[10:11], v[30:31], v[224:225]
	v_mul_f64 v[32:33], v[32:33], v[230:231]
	v_fmac_f64_e32 v[32:33], v[34:35], v[228:229]
	s_waitcnt vmcnt(3) lgkmcnt(2)
	v_mul_f64 v[0:1], v[78:79], v[234:235]
	v_fma_f64 v[14:15], v[76:77], v[232:233], -v[0:1]
	s_waitcnt vmcnt(2)
	v_mul_f64 v[0:1], v[68:69], v[238:239]
	v_fma_f64 v[18:19], v[66:67], v[236:237], -v[0:1]
	v_mul_f64 v[20:21], v[66:67], v[238:239]
	v_fmac_f64_e32 v[20:21], v[68:69], v[236:237]
	v_mul_f64 v[16:17], v[76:77], v[234:235]
	v_fmac_f64_e32 v[16:17], v[78:79], v[232:233]
	s_waitcnt vmcnt(1) lgkmcnt(1)
	v_mul_f64 v[0:1], v[82:83], v[242:243]
	v_fma_f64 v[22:23], v[80:81], v[240:241], -v[0:1]
	s_waitcnt vmcnt(0) lgkmcnt(0)
	v_mul_f64 v[0:1], v[90:91], v[246:247]
	v_fma_f64 v[30:31], v[88:89], v[244:245], -v[0:1]
	ds_read_b128 v[0:3], v108
	ds_read_b128 v[24:27], v108 offset:1456
	ds_read_b128 v[252:255], v108 offset:5824
	v_mul_f64 v[28:29], v[80:81], v[242:243]
	v_mul_f64 v[34:35], v[88:89], v[246:247]
	s_waitcnt lgkmcnt(2)
	v_add_f64 v[66:67], v[0:1], v[56:57]
	v_add_f64 v[68:69], v[2:3], v[60:61]
	;; [unrolled: 1-line block ×4, first 2 shown]
	ds_write_b128 v108, v[66:69]
	v_add_f64 v[66:67], v[56:57], v[62:63]
	v_add_f64 v[68:69], v[60:61], -v[64:65]
	v_add_f64 v[60:61], v[60:61], v[64:65]
	v_fmac_f64_e32 v[0:1], -0.5, v[66:67]
	v_fmac_f64_e32 v[2:3], -0.5, v[60:61]
	v_add_f64 v[56:57], v[56:57], -v[62:63]
	v_fma_f64 v[66:67], s[0:1], v[68:69], v[0:1]
	v_fmac_f64_e32 v[0:1], s[2:3], v[68:69]
	v_fma_f64 v[68:69], s[2:3], v[56:57], v[2:3]
	v_fmac_f64_e32 v[2:3], s[0:1], v[56:57]
	v_add_f64 v[56:57], v[50:51], v[54:55]
	s_waitcnt lgkmcnt(2)
	v_add_f64 v[60:61], v[24:25], v[50:51]
	v_fmac_f64_e32 v[24:25], -0.5, v[56:57]
	v_add_f64 v[62:63], v[52:53], -v[58:59]
	v_fma_f64 v[56:57], s[0:1], v[62:63], v[24:25]
	v_fmac_f64_e32 v[24:25], s[2:3], v[62:63]
	v_add_f64 v[62:63], v[26:27], v[52:53]
	v_add_f64 v[52:53], v[52:53], v[58:59]
	;; [unrolled: 1-line block ×3, first 2 shown]
	v_fmac_f64_e32 v[26:27], -0.5, v[52:53]
	v_add_f64 v[54:55], v[50:51], -v[54:55]
	ds_read_b128 v[50:53], v108 offset:2912
	ds_write_b128 v108, v[66:69] offset:10192
	ds_read_b128 v[64:67], v108 offset:4368
	ds_write_b128 v108, v[0:3] offset:20384
	v_add_f64 v[2:3], v[40:41], v[46:47]
	s_waitcnt lgkmcnt(3)
	v_add_f64 v[0:1], v[50:51], v[40:41]
	v_add_f64 v[76:77], v[0:1], v[46:47]
	;; [unrolled: 1-line block ×5, first 2 shown]
	v_fmac_f64_e32 v[52:53], -0.5, v[0:1]
	v_add_f64 v[0:1], v[40:41], -v[46:47]
	v_fma_f64 v[70:71], s[2:3], v[0:1], v[52:53]
	v_fmac_f64_e32 v[52:53], s[0:1], v[0:1]
	s_waitcnt lgkmcnt(1)
	v_add_f64 v[0:1], v[64:65], v[4:5]
	v_fmac_f64_e32 v[50:51], -0.5, v[2:3]
	v_add_f64 v[2:3], v[44:45], -v[48:49]
	v_add_f64 v[44:45], v[0:1], v[36:37]
	v_add_f64 v[0:1], v[66:67], v[6:7]
	v_fma_f64 v[68:69], s[0:1], v[2:3], v[50:51]
	v_fmac_f64_e32 v[50:51], s[2:3], v[2:3]
	v_add_f64 v[2:3], v[4:5], v[36:37]
	v_add_f64 v[46:47], v[0:1], v[42:43]
	;; [unrolled: 1-line block ×3, first 2 shown]
	v_fmac_f64_e32 v[64:65], -0.5, v[2:3]
	v_add_f64 v[2:3], v[6:7], -v[42:43]
	v_fmac_f64_e32 v[66:67], -0.5, v[0:1]
	v_add_f64 v[0:1], v[4:5], -v[36:37]
	ds_read_b128 v[4:7], v108 offset:7280
	v_fma_f64 v[40:41], s[0:1], v[2:3], v[64:65]
	v_fmac_f64_e32 v[64:65], s[2:3], v[2:3]
	v_add_f64 v[2:3], v[252:253], v[8:9]
	v_add_f64 v[62:63], v[62:63], v[58:59]
	v_fma_f64 v[58:59], s[2:3], v[54:55], v[26:27]
	v_fmac_f64_e32 v[26:27], s[0:1], v[54:55]
	v_add_f64 v[54:55], v[2:3], v[12:13]
	v_add_f64 v[2:3], v[254:255], v[10:11]
	ds_write_b128 v108, v[56:59] offset:11648
	v_add_f64 v[56:57], v[2:3], v[32:33]
	v_add_f64 v[2:3], v[10:11], v[32:33]
	v_fma_f64 v[42:43], s[2:3], v[0:1], v[66:67]
	v_fmac_f64_e32 v[66:67], s[0:1], v[0:1]
	v_add_f64 v[0:1], v[8:9], v[12:13]
	v_add_f64 v[36:37], v[10:11], -v[32:33]
	v_fmac_f64_e32 v[254:255], -0.5, v[2:3]
	v_add_f64 v[8:9], v[8:9], -v[12:13]
	v_add_f64 v[10:11], v[14:15], v[18:19]
	v_fma_f64 v[2:3], s[2:3], v[8:9], v[254:255]
	v_fmac_f64_e32 v[254:255], s[0:1], v[8:9]
	s_waitcnt lgkmcnt(1)
	v_add_f64 v[8:9], v[4:5], v[14:15]
	v_fmac_f64_e32 v[4:5], -0.5, v[10:11]
	v_add_f64 v[10:11], v[16:17], -v[20:21]
	v_fma_f64 v[12:13], s[0:1], v[10:11], v[4:5]
	v_fmac_f64_e32 v[4:5], s[2:3], v[10:11]
	v_add_f64 v[10:11], v[6:7], v[16:17]
	v_add_f64 v[16:17], v[16:17], v[20:21]
	v_fmac_f64_e32 v[28:29], v[82:83], v[240:241]
	v_fmac_f64_e32 v[34:35], v[90:91], v[244:245]
	v_add_f64 v[8:9], v[8:9], v[18:19]
	v_fmac_f64_e32 v[6:7], -0.5, v[16:17]
	v_add_f64 v[16:17], v[14:15], -v[18:19]
	v_add_f64 v[18:19], v[22:23], v[30:31]
	v_fma_f64 v[14:15], s[2:3], v[16:17], v[6:7]
	v_fmac_f64_e32 v[6:7], s[0:1], v[16:17]
	v_add_f64 v[16:17], v[248:249], v[22:23]
	v_fmac_f64_e32 v[248:249], -0.5, v[18:19]
	v_add_f64 v[18:19], v[28:29], -v[34:35]
	v_add_f64 v[10:11], v[10:11], v[20:21]
	v_fma_f64 v[20:21], s[0:1], v[18:19], v[248:249]
	v_fmac_f64_e32 v[248:249], s[2:3], v[18:19]
	v_add_f64 v[18:19], v[250:251], v[28:29]
	v_add_f64 v[28:29], v[28:29], v[34:35]
	v_fmac_f64_e32 v[252:253], -0.5, v[0:1]
	v_fmac_f64_e32 v[250:251], -0.5, v[28:29]
	v_add_f64 v[28:29], v[22:23], -v[30:31]
	ds_write_b128 v108, v[60:63] offset:1456
	v_fma_f64 v[0:1], s[0:1], v[36:37], v[252:253]
	v_fmac_f64_e32 v[252:253], s[2:3], v[36:37]
	v_add_f64 v[16:17], v[16:17], v[30:31]
	v_add_f64 v[18:19], v[18:19], v[34:35]
	v_fma_f64 v[22:23], s[2:3], v[28:29], v[250:251]
	v_fmac_f64_e32 v[250:251], s[0:1], v[28:29]
	ds_write_b128 v108, v[24:27] offset:21840
	ds_write_b128 v108, v[76:79] offset:2912
	;; [unrolled: 1-line block ×16, first 2 shown]
	v_add_co_u32_e64 v24, s[0:1], s8, v38
	s_waitcnt lgkmcnt(0)
	s_nop 0
	v_addc_co_u32_e64 v25, s[0:1], 0, v39, s[0:1]
	s_mov_b64 s[0:1], 0x7770
	s_barrier
	global_load_dwordx4 v[24:27], v[24:25], off offset:1904
	v_lshl_add_u64 v[28:29], v[38:39], 0, s[0:1]
	global_load_dwordx4 v[30:33], v[28:29], off offset:2352
	s_mov_b32 s0, 0x8000
	v_add_co_u32_e64 v34, s[0:1], s0, v38
	s_nop 1
	v_addc_co_u32_e64 v35, s[0:1], 0, v39, s[0:1]
	global_load_dwordx4 v[34:37], v[34:35], off offset:2512
	ds_read_b128 v[40:43], v108
	ds_read_b128 v[44:47], v108 offset:2352
	s_mov_b32 s0, 0x9000
	v_add_co_u32_e64 v56, s[0:1], s0, v38
	s_waitcnt vmcnt(2) lgkmcnt(1)
	v_mul_f64 v[48:49], v[42:43], v[26:27]
	v_mul_f64 v[50:51], v[40:41], v[26:27]
	v_fma_f64 v[48:49], v[40:41], v[24:25], -v[48:49]
	v_fmac_f64_e32 v[50:51], v[42:43], v[24:25]
	s_waitcnt vmcnt(1) lgkmcnt(0)
	v_mul_f64 v[24:25], v[46:47], v[32:33]
	v_mul_f64 v[42:43], v[44:45], v[32:33]
	v_addc_co_u32_e64 v57, s[0:1], 0, v39, s[0:1]
	v_fma_f64 v[40:41], v[44:45], v[30:31], -v[24:25]
	v_fmac_f64_e32 v[42:43], v[46:47], v[30:31]
	ds_read_b128 v[24:27], v108 offset:4704
	ds_read_b128 v[30:33], v108 offset:7056
	global_load_dwordx4 v[44:47], v[56:57], off offset:768
	s_mov_b32 s0, 0xa000
	s_waitcnt vmcnt(1) lgkmcnt(1)
	v_mul_f64 v[52:53], v[26:27], v[36:37]
	v_mul_f64 v[54:55], v[24:25], v[36:37]
	v_fma_f64 v[52:53], v[24:25], v[34:35], -v[52:53]
	v_fmac_f64_e32 v[54:55], v[26:27], v[34:35]
	global_load_dwordx4 v[34:37], v[56:57], off offset:3120
	v_add_co_u32_e64 v24, s[0:1], s0, v38
	s_nop 1
	v_addc_co_u32_e64 v25, s[0:1], 0, v39, s[0:1]
	global_load_dwordx4 v[56:59], v[24:25], off offset:1376
	global_load_dwordx4 v[60:63], v[24:25], off offset:3728
	s_mov_b32 s0, 0xb000
	v_add_co_u32_e64 v24, s[0:1], s0, v38
	ds_write_b128 v108, v[48:51]
	s_nop 0
	v_addc_co_u32_e64 v25, s[0:1], 0, v39, s[0:1]
	global_load_dwordx4 v[24:27], v[24:25], off offset:1984
	ds_write_b128 v108, v[40:43] offset:2352
	ds_write_b128 v108, v[52:55] offset:4704
	ds_read_b128 v[40:43], v108 offset:9408
	s_mov_b32 s0, 0xc000
	s_waitcnt vmcnt(4) lgkmcnt(4)
	v_mul_f64 v[48:49], v[32:33], v[46:47]
	v_mul_f64 v[50:51], v[30:31], v[46:47]
	v_fma_f64 v[48:49], v[30:31], v[44:45], -v[48:49]
	v_fmac_f64_e32 v[50:51], v[32:33], v[44:45]
	ds_read_b128 v[30:33], v108 offset:11760
	ds_write_b128 v108, v[48:51] offset:7056
	s_waitcnt vmcnt(3) lgkmcnt(2)
	v_mul_f64 v[44:45], v[42:43], v[36:37]
	v_mul_f64 v[46:47], v[40:41], v[36:37]
	v_fma_f64 v[44:45], v[40:41], v[34:35], -v[44:45]
	v_fmac_f64_e32 v[46:47], v[42:43], v[34:35]
	ds_read_b128 v[34:37], v108 offset:14112
	s_waitcnt vmcnt(2) lgkmcnt(2)
	v_mul_f64 v[40:41], v[32:33], v[58:59]
	v_mul_f64 v[42:43], v[30:31], v[58:59]
	v_fma_f64 v[40:41], v[30:31], v[56:57], -v[40:41]
	v_fmac_f64_e32 v[42:43], v[32:33], v[56:57]
	ds_read_b128 v[30:33], v108 offset:16464
	v_add_co_u32_e64 v56, s[0:1], s0, v38
	s_waitcnt vmcnt(1) lgkmcnt(1)
	v_mul_f64 v[52:53], v[36:37], v[62:63]
	v_addc_co_u32_e64 v57, s[0:1], 0, v39, s[0:1]
	s_waitcnt vmcnt(0) lgkmcnt(0)
	v_mul_f64 v[48:49], v[32:33], v[26:27]
	s_mov_b32 s0, 0xd000
	v_mul_f64 v[54:55], v[34:35], v[62:63]
	v_fma_f64 v[48:49], v[30:31], v[24:25], -v[48:49]
	v_mul_f64 v[50:51], v[30:31], v[26:27]
	v_add_co_u32_e64 v30, s[0:1], s0, v38
	v_fma_f64 v[52:53], v[34:35], v[60:61], -v[52:53]
	v_fmac_f64_e32 v[54:55], v[36:37], v[60:61]
	global_load_dwordx4 v[34:37], v[56:57], off offset:240
	v_addc_co_u32_e64 v31, s[0:1], 0, v39, s[0:1]
	s_mov_b32 s0, 0xe000
	s_nop 0
	v_add_co_u32_e64 v38, s[0:1], s0, v38
	v_fmac_f64_e32 v[50:51], v[32:33], v[24:25]
	s_nop 0
	v_addc_co_u32_e64 v39, s[0:1], 0, v39, s[0:1]
	global_load_dwordx4 v[24:27], v[30:31], off offset:848
	ds_write_b128 v108, v[44:47] offset:9408
	global_load_dwordx4 v[44:47], v[38:39], off offset:1456
	ds_write_b128 v108, v[40:43] offset:11760
	global_load_dwordx4 v[30:33], v[30:31], off offset:3200
	ds_read_b128 v[38:41], v108 offset:18816
	global_load_dwordx4 v[56:59], v[56:57], off offset:2592
	ds_write_b128 v108, v[52:55] offset:14112
	ds_write_b128 v108, v[48:51] offset:16464
	ds_read_b128 v[48:51], v108 offset:21168
	s_waitcnt vmcnt(4) lgkmcnt(3)
	v_mul_f64 v[42:43], v[40:41], v[36:37]
	v_mul_f64 v[54:55], v[38:39], v[36:37]
	v_fma_f64 v[52:53], v[38:39], v[34:35], -v[42:43]
	v_fmac_f64_e32 v[54:55], v[40:41], v[34:35]
	ds_read_b128 v[38:41], v108 offset:23520
	ds_write_b128 v108, v[52:55] offset:18816
	s_waitcnt vmcnt(3) lgkmcnt(1)
	v_mul_f64 v[42:43], v[40:41], v[26:27]
	s_waitcnt vmcnt(0)
	v_mul_f64 v[34:35], v[50:51], v[58:59]
	v_mul_f64 v[36:37], v[48:49], v[58:59]
	v_fma_f64 v[34:35], v[48:49], v[56:57], -v[34:35]
	v_fmac_f64_e32 v[36:37], v[50:51], v[56:57]
	ds_write_b128 v108, v[34:37] offset:21168
	ds_read_b128 v[34:37], v108 offset:25872
	v_mul_f64 v[50:51], v[38:39], v[26:27]
	v_fma_f64 v[48:49], v[38:39], v[24:25], -v[42:43]
	v_fmac_f64_e32 v[50:51], v[40:41], v[24:25]
	ds_read_b128 v[24:27], v108 offset:28224
	s_waitcnt lgkmcnt(1)
	v_mul_f64 v[38:39], v[36:37], v[32:33]
	v_mul_f64 v[40:41], v[34:35], v[32:33]
	v_fma_f64 v[38:39], v[34:35], v[30:31], -v[38:39]
	v_fmac_f64_e32 v[40:41], v[36:37], v[30:31]
	s_waitcnt lgkmcnt(0)
	v_mul_f64 v[30:31], v[26:27], v[46:47]
	v_mul_f64 v[32:33], v[24:25], v[46:47]
	v_fma_f64 v[30:31], v[24:25], v[44:45], -v[30:31]
	v_fmac_f64_e32 v[32:33], v[26:27], v[44:45]
	ds_write_b128 v108, v[48:51] offset:23520
	ds_write_b128 v108, v[38:41] offset:25872
	;; [unrolled: 1-line block ×3, first 2 shown]
	s_and_saveexec_b64 s[2:3], vcc
	s_cbranch_execz .LBB0_9
; %bb.8:
	global_load_dwordx4 v[30:33], v[28:29], off offset:1456
	ds_read_b128 v[24:27], v108 offset:1456
	s_movk_i32 s0, 0x1000
	s_waitcnt vmcnt(0) lgkmcnt(0)
	v_mul_f64 v[34:35], v[26:27], v[32:33]
	v_mul_f64 v[36:37], v[24:25], v[32:33]
	v_fma_f64 v[34:35], v[24:25], v[30:31], -v[34:35]
	v_fmac_f64_e32 v[36:37], v[26:27], v[30:31]
	global_load_dwordx4 v[30:33], v[28:29], off offset:3808
	ds_read_b128 v[24:27], v108 offset:3808
	ds_write_b128 v108, v[34:37] offset:1456
	s_waitcnt vmcnt(0) lgkmcnt(1)
	v_mul_f64 v[34:35], v[26:27], v[32:33]
	v_mul_f64 v[36:37], v[24:25], v[32:33]
	v_fma_f64 v[34:35], v[24:25], v[30:31], -v[34:35]
	v_fmac_f64_e32 v[36:37], v[26:27], v[30:31]
	v_add_co_u32_e64 v30, s[0:1], s0, v28
	ds_read_b128 v[24:27], v108 offset:6160
	s_nop 0
	v_addc_co_u32_e64 v31, s[0:1], 0, v29, s[0:1]
	global_load_dwordx4 v[30:33], v[30:31], off offset:2064
	v_add_co_u32_e64 v38, s[0:1], s12, v28
	ds_write_b128 v108, v[34:37] offset:3808
	s_nop 0
	v_addc_co_u32_e64 v39, s[0:1], 0, v29, s[0:1]
	s_movk_i32 s0, 0x3000
	s_waitcnt vmcnt(0) lgkmcnt(1)
	v_mul_f64 v[34:35], v[26:27], v[32:33]
	v_mul_f64 v[36:37], v[24:25], v[32:33]
	v_fma_f64 v[34:35], v[24:25], v[30:31], -v[34:35]
	v_fmac_f64_e32 v[36:37], v[26:27], v[30:31]
	global_load_dwordx4 v[30:33], v[38:39], off offset:320
	ds_read_b128 v[24:27], v108 offset:8512
	ds_write_b128 v108, v[34:37] offset:6160
	s_waitcnt vmcnt(0) lgkmcnt(1)
	v_mul_f64 v[34:35], v[26:27], v[32:33]
	v_mul_f64 v[36:37], v[24:25], v[32:33]
	v_fma_f64 v[34:35], v[24:25], v[30:31], -v[34:35]
	v_fmac_f64_e32 v[36:37], v[26:27], v[30:31]
	global_load_dwordx4 v[30:33], v[38:39], off offset:2672
	ds_read_b128 v[24:27], v108 offset:10864
	v_add_co_u32_e64 v38, s[0:1], s0, v28
	ds_write_b128 v108, v[34:37] offset:8512
	s_nop 0
	v_addc_co_u32_e64 v39, s[0:1], 0, v29, s[0:1]
	s_movk_i32 s0, 0x4000
	s_waitcnt vmcnt(0) lgkmcnt(1)
	v_mul_f64 v[34:35], v[26:27], v[32:33]
	v_mul_f64 v[36:37], v[24:25], v[32:33]
	v_fma_f64 v[34:35], v[24:25], v[30:31], -v[34:35]
	v_fmac_f64_e32 v[36:37], v[26:27], v[30:31]
	global_load_dwordx4 v[30:33], v[38:39], off offset:928
	ds_read_b128 v[24:27], v108 offset:13216
	ds_write_b128 v108, v[34:37] offset:10864
	s_waitcnt vmcnt(0) lgkmcnt(1)
	v_mul_f64 v[34:35], v[26:27], v[32:33]
	v_mul_f64 v[36:37], v[24:25], v[32:33]
	v_fma_f64 v[34:35], v[24:25], v[30:31], -v[34:35]
	v_fmac_f64_e32 v[36:37], v[26:27], v[30:31]
	global_load_dwordx4 v[30:33], v[38:39], off offset:3280
	ds_read_b128 v[24:27], v108 offset:15568
	;; [unrolled: 20-line block ×3, first 2 shown]
	ds_write_b128 v108, v[34:37] offset:17920
	s_waitcnt vmcnt(0) lgkmcnt(1)
	v_mul_f64 v[34:35], v[26:27], v[32:33]
	v_mul_f64 v[36:37], v[24:25], v[32:33]
	v_fma_f64 v[34:35], v[24:25], v[30:31], -v[34:35]
	v_fmac_f64_e32 v[36:37], v[26:27], v[30:31]
	v_add_co_u32_e64 v30, s[0:1], s0, v28
	ds_read_b128 v[24:27], v108 offset:22624
	s_nop 0
	v_addc_co_u32_e64 v31, s[0:1], 0, v29, s[0:1]
	global_load_dwordx4 v[30:33], v[30:31], off offset:2144
	s_movk_i32 s0, 0x6000
	v_add_co_u32_e64 v38, s[0:1], s0, v28
	ds_write_b128 v108, v[34:37] offset:20272
	s_nop 0
	v_addc_co_u32_e64 v39, s[0:1], 0, v29, s[0:1]
	v_add_co_u32_e64 v28, s[0:1], s8, v28
	s_waitcnt vmcnt(0) lgkmcnt(1)
	v_mul_f64 v[34:35], v[26:27], v[32:33]
	v_mul_f64 v[36:37], v[24:25], v[32:33]
	v_fma_f64 v[34:35], v[24:25], v[30:31], -v[34:35]
	v_fmac_f64_e32 v[36:37], v[26:27], v[30:31]
	global_load_dwordx4 v[30:33], v[38:39], off offset:400
	ds_read_b128 v[24:27], v108 offset:24976
	ds_write_b128 v108, v[34:37] offset:22624
	v_addc_co_u32_e64 v29, s[0:1], 0, v29, s[0:1]
	s_waitcnt vmcnt(0) lgkmcnt(1)
	v_mul_f64 v[34:35], v[26:27], v[32:33]
	v_mul_f64 v[36:37], v[24:25], v[32:33]
	v_fma_f64 v[34:35], v[24:25], v[30:31], -v[34:35]
	v_fmac_f64_e32 v[36:37], v[26:27], v[30:31]
	global_load_dwordx4 v[30:33], v[38:39], off offset:2752
	ds_read_b128 v[24:27], v108 offset:27328
	ds_write_b128 v108, v[34:37] offset:24976
	s_waitcnt vmcnt(0) lgkmcnt(1)
	v_mul_f64 v[34:35], v[26:27], v[32:33]
	v_mul_f64 v[36:37], v[24:25], v[32:33]
	v_fma_f64 v[34:35], v[24:25], v[30:31], -v[34:35]
	v_fmac_f64_e32 v[36:37], v[26:27], v[30:31]
	global_load_dwordx4 v[28:31], v[28:29], off offset:1008
	ds_read_b128 v[24:27], v108 offset:29680
	ds_write_b128 v108, v[34:37] offset:27328
	s_waitcnt vmcnt(0) lgkmcnt(1)
	v_mul_f64 v[32:33], v[26:27], v[30:31]
	v_mul_f64 v[34:35], v[24:25], v[30:31]
	v_fma_f64 v[32:33], v[24:25], v[28:29], -v[32:33]
	v_fmac_f64_e32 v[34:35], v[26:27], v[28:29]
	ds_write_b128 v108, v[32:35] offset:29680
.LBB0_9:
	s_or_b64 exec, exec, s[2:3]
	s_waitcnt lgkmcnt(0)
	s_barrier
	ds_read_b128 v[64:67], v108
	ds_read_b128 v[76:79], v108 offset:2352
	ds_read_b128 v[60:63], v108 offset:4704
	ds_read_b128 v[48:51], v108 offset:7056
	ds_read_b128 v[40:43], v108 offset:9408
	ds_read_b128 v[32:35], v108 offset:11760
	ds_read_b128 v[24:27], v108 offset:14112
	ds_read_b128 v[28:31], v108 offset:16464
	ds_read_b128 v[36:39], v108 offset:18816
	ds_read_b128 v[44:47], v108 offset:21168
	ds_read_b128 v[52:55], v108 offset:23520
	ds_read_b128 v[68:71], v108 offset:25872
	ds_read_b128 v[80:83], v108 offset:28224
	s_and_saveexec_b64 s[0:1], vcc
	s_cbranch_execz .LBB0_11
; %bb.10:
	ds_read_b128 v[0:3], v108 offset:1456
	ds_read_b128 v[252:255], v108 offset:3808
	;; [unrolled: 1-line block ×13, first 2 shown]
.LBB0_11:
	s_or_b64 exec, exec, s[0:1]
	s_waitcnt lgkmcnt(11)
	v_add_f64 v[56:57], v[64:65], v[76:77]
	v_add_f64 v[58:59], v[66:67], v[78:79]
	s_waitcnt lgkmcnt(10)
	v_add_f64 v[56:57], v[56:57], v[60:61]
	v_add_f64 v[58:59], v[58:59], v[62:63]
	;; [unrolled: 3-line block ×9, first 2 shown]
	s_waitcnt lgkmcnt(2)
	v_add_f64 v[56:57], v[56:57], v[52:53]
	s_mov_b32 s8, 0x4267c47c
	s_mov_b32 s14, 0x42a4c3d2
	;; [unrolled: 1-line block ×6, first 2 shown]
	v_add_f64 v[58:59], v[58:59], v[54:55]
	s_waitcnt lgkmcnt(1)
	v_add_f64 v[56:57], v[56:57], v[68:69]
	s_waitcnt lgkmcnt(0)
	v_add_f64 v[90:91], v[78:79], v[82:83]
	v_add_f64 v[78:79], v[78:79], -v[82:83]
	s_mov_b32 s9, 0xbfddbe06
	s_mov_b32 s0, 0xe00740e9
	;; [unrolled: 1-line block ×12, first 2 shown]
	v_add_f64 v[58:59], v[58:59], v[70:71]
	v_add_f64 v[56:57], v[56:57], v[80:81]
	;; [unrolled: 1-line block ×3, first 2 shown]
	v_add_f64 v[76:77], v[76:77], -v[80:81]
	v_mul_f64 v[80:81], v[78:79], s[8:9]
	s_mov_b32 s1, 0x3fec55a7
	v_mul_f64 v[100:101], v[78:79], s[14:15]
	s_mov_b32 s3, 0x3fe22d96
	;; [unrolled: 2-line block ×6, first 2 shown]
	v_add_f64 v[58:59], v[58:59], v[82:83]
	v_fma_f64 v[82:83], s[0:1], v[88:89], v[80:81]
	v_fma_f64 v[80:81], v[88:89], s[0:1], -v[80:81]
	v_fma_f64 v[102:103], s[2:3], v[88:89], v[100:101]
	v_fma_f64 v[100:101], v[88:89], s[2:3], -v[100:101]
	;; [unrolled: 2-line block ×6, first 2 shown]
	v_add_f64 v[82:83], v[64:65], v[82:83]
	v_mul_f64 v[92:93], v[90:91], s[0:1]
	s_mov_b32 s25, 0x3fddbe06
	s_mov_b32 s24, s8
	v_add_f64 v[80:81], v[64:65], v[80:81]
	v_add_f64 v[102:103], v[64:65], v[102:103]
	v_mul_f64 v[116:117], v[90:91], s[2:3]
	s_mov_b32 s41, 0x3fea55e2
	s_mov_b32 s40, s14
	v_add_f64 v[100:101], v[64:65], v[100:101]
	;; [unrolled: 5-line block ×6, first 2 shown]
	v_add_f64 v[78:79], v[62:63], v[70:71]
	v_add_f64 v[62:63], v[62:63], -v[70:71]
	v_fma_f64 v[94:95], s[24:25], v[76:77], v[92:93]
	v_fmac_f64_e32 v[92:93], s[8:9], v[76:77]
	v_fma_f64 v[118:119], s[40:41], v[76:77], v[116:117]
	v_fmac_f64_e32 v[116:117], s[14:15], v[76:77]
	;; [unrolled: 2-line block ×6, first 2 shown]
	v_add_f64 v[76:77], v[60:61], v[68:69]
	v_add_f64 v[60:61], v[60:61], -v[68:69]
	v_mul_f64 v[68:69], v[62:63], s[14:15]
	v_fma_f64 v[70:71], s[2:3], v[76:77], v[68:69]
	v_add_f64 v[70:71], v[70:71], v[82:83]
	v_mul_f64 v[82:83], v[78:79], s[2:3]
	v_add_f64 v[92:93], v[66:67], v[92:93]
	v_fma_f64 v[88:89], s[40:41], v[60:61], v[82:83]
	v_fma_f64 v[68:69], v[76:77], s[2:3], -v[68:69]
	v_fmac_f64_e32 v[82:83], s[14:15], v[60:61]
	v_add_f64 v[68:69], v[68:69], v[80:81]
	v_add_f64 v[80:81], v[82:83], v[92:93]
	v_mul_f64 v[82:83], v[62:63], s[22:23]
	v_add_f64 v[94:95], v[66:67], v[94:95]
	v_add_f64 v[118:119], v[66:67], v[118:119]
	;; [unrolled: 1-line block ×11, first 2 shown]
	v_fma_f64 v[90:91], s[16:17], v[76:77], v[82:83]
	v_mul_f64 v[92:93], v[78:79], s[16:17]
	v_fma_f64 v[82:83], v[76:77], s[16:17], -v[82:83]
	v_add_f64 v[88:89], v[88:89], v[94:95]
	v_fma_f64 v[94:95], s[38:39], v[60:61], v[92:93]
	v_add_f64 v[82:83], v[82:83], v[100:101]
	v_fmac_f64_e32 v[92:93], s[22:23], v[60:61]
	v_mul_f64 v[100:101], v[62:63], s[30:31]
	v_add_f64 v[90:91], v[90:91], v[102:103]
	v_add_f64 v[92:93], v[92:93], v[116:117]
	v_fma_f64 v[102:103], s[26:27], v[76:77], v[100:101]
	v_mul_f64 v[116:117], v[78:79], s[26:27]
	v_fma_f64 v[100:101], v[76:77], s[26:27], -v[100:101]
	v_add_f64 v[94:95], v[94:95], v[118:119]
	v_fma_f64 v[118:119], s[42:43], v[60:61], v[116:117]
	v_add_f64 v[100:101], v[100:101], v[124:125]
	v_fmac_f64_e32 v[116:117], s[30:31], v[60:61]
	v_mul_f64 v[124:125], v[62:63], s[36:37]
	v_add_f64 v[102:103], v[102:103], v[126:127]
	v_add_f64 v[116:117], v[116:117], v[128:129]
	;; [unrolled: 10-line block ×3, first 2 shown]
	v_fma_f64 v[134:135], s[12:13], v[76:77], v[132:133]
	v_mul_f64 v[136:137], v[78:79], s[12:13]
	v_mul_f64 v[78:79], v[78:79], s[0:1]
	v_add_f64 v[134:135], v[134:135], v[142:143]
	v_fma_f64 v[132:133], v[76:77], s[12:13], -v[132:133]
	v_mul_f64 v[62:63], v[62:63], s[24:25]
	v_fma_f64 v[142:143], s[8:9], v[60:61], v[78:79]
	v_fmac_f64_e32 v[78:79], s[24:25], v[60:61]
	v_add_f64 v[130:131], v[130:131], v[138:139]
	v_fma_f64 v[138:139], s[18:19], v[60:61], v[136:137]
	v_add_f64 v[132:133], v[132:133], v[140:141]
	v_fmac_f64_e32 v[136:137], s[34:35], v[60:61]
	v_fma_f64 v[140:141], s[0:1], v[76:77], v[62:63]
	v_fma_f64 v[62:63], v[76:77], s[0:1], -v[62:63]
	v_add_f64 v[60:61], v[78:79], v[66:67]
	v_add_f64 v[66:67], v[50:51], v[54:55]
	v_add_f64 v[50:51], v[50:51], -v[54:55]
	v_add_f64 v[62:63], v[62:63], v[64:65]
	v_add_f64 v[64:65], v[48:49], v[52:53]
	v_add_f64 v[48:49], v[48:49], -v[52:53]
	v_mul_f64 v[52:53], v[50:51], s[18:19]
	v_fma_f64 v[54:55], s[12:13], v[64:65], v[52:53]
	v_add_f64 v[54:55], v[54:55], v[70:71]
	v_mul_f64 v[70:71], v[66:67], s[12:13]
	v_fma_f64 v[76:77], s[34:35], v[48:49], v[70:71]
	v_fma_f64 v[52:53], v[64:65], s[12:13], -v[52:53]
	v_fmac_f64_e32 v[70:71], s[18:19], v[48:49]
	v_add_f64 v[52:53], v[52:53], v[68:69]
	v_add_f64 v[68:69], v[70:71], v[80:81]
	v_mul_f64 v[70:71], v[50:51], s[30:31]
	v_fma_f64 v[78:79], s[26:27], v[64:65], v[70:71]
	v_fma_f64 v[70:71], v[64:65], s[26:27], -v[70:71]
	v_mul_f64 v[80:81], v[66:67], s[26:27]
	v_add_f64 v[70:71], v[70:71], v[82:83]
	v_mul_f64 v[82:83], v[50:51], s[38:39]
	v_add_f64 v[76:77], v[76:77], v[88:89]
	v_add_f64 v[78:79], v[78:79], v[90:91]
	v_fma_f64 v[88:89], s[42:43], v[48:49], v[80:81]
	v_fmac_f64_e32 v[80:81], s[30:31], v[48:49]
	v_fma_f64 v[90:91], s[16:17], v[64:65], v[82:83]
	v_fma_f64 v[82:83], v[64:65], s[16:17], -v[82:83]
	v_add_f64 v[80:81], v[80:81], v[92:93]
	v_mul_f64 v[92:93], v[66:67], s[16:17]
	v_add_f64 v[82:83], v[82:83], v[100:101]
	v_mul_f64 v[100:101], v[50:51], s[24:25]
	v_add_f64 v[88:89], v[88:89], v[94:95]
	v_add_f64 v[90:91], v[90:91], v[102:103]
	v_fma_f64 v[94:95], s[22:23], v[48:49], v[92:93]
	v_fmac_f64_e32 v[92:93], s[38:39], v[48:49]
	v_fma_f64 v[102:103], s[0:1], v[64:65], v[100:101]
	v_fma_f64 v[100:101], v[64:65], s[0:1], -v[100:101]
	v_add_f64 v[92:93], v[92:93], v[116:117]
	v_mul_f64 v[116:117], v[66:67], s[0:1]
	v_add_f64 v[100:101], v[100:101], v[124:125]
	v_mul_f64 v[124:125], v[50:51], s[14:15]
	v_add_f64 v[94:95], v[94:95], v[118:119]
	v_add_f64 v[102:103], v[102:103], v[126:127]
	v_fma_f64 v[118:119], s[8:9], v[48:49], v[116:117]
	v_fmac_f64_e32 v[116:117], s[24:25], v[48:49]
	v_fma_f64 v[126:127], s[2:3], v[64:65], v[124:125]
	v_fma_f64 v[124:125], v[64:65], s[2:3], -v[124:125]
	v_mul_f64 v[50:51], v[50:51], s[28:29]
	v_add_f64 v[116:117], v[116:117], v[128:129]
	v_mul_f64 v[128:129], v[66:67], s[2:3]
	v_add_f64 v[124:125], v[124:125], v[132:133]
	v_fma_f64 v[132:133], s[20:21], v[64:65], v[50:51]
	v_mul_f64 v[66:67], v[66:67], s[20:21]
	v_fma_f64 v[50:51], v[64:65], s[20:21], -v[50:51]
	v_add_f64 v[126:127], v[126:127], v[134:135]
	v_fma_f64 v[134:135], s[36:37], v[48:49], v[66:67]
	v_add_f64 v[50:51], v[50:51], v[62:63]
	v_fmac_f64_e32 v[66:67], s[28:29], v[48:49]
	v_add_f64 v[62:63], v[42:43], v[46:47]
	v_add_f64 v[42:43], v[42:43], -v[46:47]
	v_add_f64 v[118:119], v[118:119], v[130:131]
	v_fma_f64 v[130:131], s[40:41], v[48:49], v[128:129]
	v_fmac_f64_e32 v[128:129], s[14:15], v[48:49]
	v_add_f64 v[48:49], v[66:67], v[60:61]
	v_add_f64 v[60:61], v[40:41], v[44:45]
	v_add_f64 v[40:41], v[40:41], -v[44:45]
	v_mul_f64 v[44:45], v[42:43], s[22:23]
	v_fma_f64 v[46:47], s[16:17], v[60:61], v[44:45]
	v_add_f64 v[46:47], v[46:47], v[54:55]
	v_mul_f64 v[54:55], v[62:63], s[16:17]
	v_fma_f64 v[64:65], s[38:39], v[40:41], v[54:55]
	v_fma_f64 v[44:45], v[60:61], s[16:17], -v[44:45]
	v_fmac_f64_e32 v[54:55], s[22:23], v[40:41]
	v_add_f64 v[44:45], v[44:45], v[52:53]
	v_add_f64 v[52:53], v[54:55], v[68:69]
	v_mul_f64 v[54:55], v[42:43], s[36:37]
	v_fma_f64 v[66:67], s[20:21], v[60:61], v[54:55]
	v_fma_f64 v[54:55], v[60:61], s[20:21], -v[54:55]
	v_mul_f64 v[68:69], v[62:63], s[20:21]
	v_add_f64 v[54:55], v[54:55], v[70:71]
	v_mul_f64 v[70:71], v[42:43], s[24:25]
	v_add_f64 v[64:65], v[64:65], v[76:77]
	v_add_f64 v[66:67], v[66:67], v[78:79]
	v_fma_f64 v[76:77], s[28:29], v[40:41], v[68:69]
	v_fmac_f64_e32 v[68:69], s[36:37], v[40:41]
	v_fma_f64 v[78:79], s[0:1], v[60:61], v[70:71]
	v_fma_f64 v[70:71], v[60:61], s[0:1], -v[70:71]
	v_add_f64 v[68:69], v[68:69], v[80:81]
	v_mul_f64 v[80:81], v[62:63], s[0:1]
	v_add_f64 v[70:71], v[70:71], v[82:83]
	v_mul_f64 v[82:83], v[42:43], s[18:19]
	v_add_f64 v[76:77], v[76:77], v[88:89]
	v_add_f64 v[78:79], v[78:79], v[90:91]
	v_fma_f64 v[88:89], s[8:9], v[40:41], v[80:81]
	v_fmac_f64_e32 v[80:81], s[24:25], v[40:41]
	v_fma_f64 v[90:91], s[12:13], v[60:61], v[82:83]
	v_fma_f64 v[82:83], v[60:61], s[12:13], -v[82:83]
	v_add_f64 v[80:81], v[80:81], v[92:93]
	v_mul_f64 v[92:93], v[62:63], s[12:13]
	v_add_f64 v[82:83], v[82:83], v[100:101]
	v_mul_f64 v[100:101], v[42:43], s[42:43]
	v_add_f64 v[88:89], v[88:89], v[94:95]
	v_add_f64 v[90:91], v[90:91], v[102:103]
	v_fma_f64 v[94:95], s[34:35], v[40:41], v[92:93]
	v_fmac_f64_e32 v[92:93], s[18:19], v[40:41]
	v_fma_f64 v[102:103], s[26:27], v[60:61], v[100:101]
	v_fma_f64 v[100:101], v[60:61], s[26:27], -v[100:101]
	v_mul_f64 v[42:43], v[42:43], s[40:41]
	v_add_f64 v[92:93], v[92:93], v[116:117]
	v_mul_f64 v[116:117], v[62:63], s[26:27]
	v_add_f64 v[100:101], v[100:101], v[124:125]
	v_fma_f64 v[124:125], s[2:3], v[60:61], v[42:43]
	v_mul_f64 v[62:63], v[62:63], s[2:3]
	v_fma_f64 v[42:43], v[60:61], s[2:3], -v[42:43]
	v_add_f64 v[102:103], v[102:103], v[126:127]
	v_fma_f64 v[126:127], s[14:15], v[40:41], v[62:63]
	v_add_f64 v[42:43], v[42:43], v[50:51]
	v_fmac_f64_e32 v[62:63], s[40:41], v[40:41]
	v_add_f64 v[50:51], v[34:35], v[38:39]
	v_add_f64 v[34:35], v[34:35], -v[38:39]
	v_add_f64 v[94:95], v[94:95], v[118:119]
	v_fma_f64 v[118:119], s[30:31], v[40:41], v[116:117]
	v_fmac_f64_e32 v[116:117], s[42:43], v[40:41]
	v_add_f64 v[40:41], v[62:63], v[48:49]
	v_add_f64 v[48:49], v[32:33], v[36:37]
	v_add_f64 v[32:33], v[32:33], -v[36:37]
	v_mul_f64 v[36:37], v[34:35], s[28:29]
	v_fma_f64 v[38:39], s[20:21], v[48:49], v[36:37]
	v_add_f64 v[38:39], v[38:39], v[46:47]
	v_mul_f64 v[46:47], v[50:51], s[20:21]
	v_fma_f64 v[60:61], s[36:37], v[32:33], v[46:47]
	v_fma_f64 v[36:37], v[48:49], s[20:21], -v[36:37]
	v_fmac_f64_e32 v[46:47], s[28:29], v[32:33]
	v_add_f64 v[36:37], v[36:37], v[44:45]
	v_add_f64 v[44:45], v[46:47], v[52:53]
	v_mul_f64 v[46:47], v[34:35], s[34:35]
	v_mul_f64 v[62:63], v[50:51], s[12:13]
	v_add_f64 v[60:61], v[60:61], v[64:65]
	v_fma_f64 v[52:53], s[12:13], v[48:49], v[46:47]
	v_fma_f64 v[64:65], s[18:19], v[32:33], v[62:63]
	v_fma_f64 v[46:47], v[48:49], s[12:13], -v[46:47]
	v_fmac_f64_e32 v[62:63], s[34:35], v[32:33]
	v_add_f64 v[46:47], v[46:47], v[54:55]
	v_add_f64 v[54:55], v[62:63], v[68:69]
	v_mul_f64 v[62:63], v[34:35], s[14:15]
	v_add_f64 v[52:53], v[52:53], v[66:67]
	v_fma_f64 v[66:67], s[2:3], v[48:49], v[62:63]
	v_fma_f64 v[62:63], v[48:49], s[2:3], -v[62:63]
	v_mul_f64 v[68:69], v[50:51], s[2:3]
	v_add_f64 v[62:63], v[62:63], v[70:71]
	v_mul_f64 v[70:71], v[34:35], s[42:43]
	v_add_f64 v[64:65], v[64:65], v[76:77]
	v_add_f64 v[66:67], v[66:67], v[78:79]
	v_fma_f64 v[76:77], s[40:41], v[32:33], v[68:69]
	v_fmac_f64_e32 v[68:69], s[14:15], v[32:33]
	v_fma_f64 v[78:79], s[26:27], v[48:49], v[70:71]
	v_fma_f64 v[70:71], v[48:49], s[26:27], -v[70:71]
	v_add_f64 v[138:139], v[138:139], v[146:147]
	v_add_f64 v[140:141], v[140:141], v[148:149]
	v_add_f64 v[68:69], v[68:69], v[80:81]
	v_mul_f64 v[80:81], v[50:51], s[26:27]
	v_add_f64 v[70:71], v[70:71], v[82:83]
	v_mul_f64 v[82:83], v[34:35], s[24:25]
	v_add_f64 v[136:137], v[136:137], v[144:145]
	v_add_f64 v[142:143], v[142:143], v[150:151]
	;; [unrolled: 1-line block ×6, first 2 shown]
	v_fma_f64 v[88:89], s[30:31], v[32:33], v[80:81]
	v_fmac_f64_e32 v[80:81], s[42:43], v[32:33]
	v_fma_f64 v[90:91], s[0:1], v[48:49], v[82:83]
	v_fma_f64 v[82:83], v[48:49], s[0:1], -v[82:83]
	v_mul_f64 v[34:35], v[34:35], s[22:23]
	v_add_f64 v[128:129], v[128:129], v[136:137]
	v_add_f64 v[134:135], v[134:135], v[142:143]
	;; [unrolled: 1-line block ×5, first 2 shown]
	v_mul_f64 v[92:93], v[50:51], s[0:1]
	v_add_f64 v[82:83], v[82:83], v[100:101]
	v_fma_f64 v[100:101], s[16:17], v[48:49], v[34:35]
	v_mul_f64 v[50:51], v[50:51], s[16:17]
	v_add_f64 v[130:131], v[26:27], -v[30:31]
	v_add_f64 v[116:117], v[116:117], v[128:129]
	v_add_f64 v[126:127], v[126:127], v[134:135]
	;; [unrolled: 1-line block ×4, first 2 shown]
	v_fma_f64 v[102:103], s[38:39], v[32:33], v[50:51]
	v_add_f64 v[124:125], v[24:25], v[28:29]
	v_add_f64 v[128:129], v[24:25], -v[28:29]
	v_mul_f64 v[28:29], v[130:131], s[30:31]
	v_add_f64 v[102:103], v[102:103], v[126:127]
	v_add_f64 v[126:127], v[26:27], v[30:31]
	v_fma_f64 v[24:25], s[26:27], v[124:125], v[28:29]
	v_fma_f64 v[28:29], v[124:125], s[26:27], -v[28:29]
	v_mul_f64 v[30:31], v[126:127], s[26:27]
	v_add_f64 v[28:29], v[28:29], v[36:37]
	v_mul_f64 v[36:37], v[130:131], s[24:25]
	v_add_f64 v[88:89], v[88:89], v[94:95]
	v_fma_f64 v[94:95], s[8:9], v[32:33], v[92:93]
	v_fmac_f64_e32 v[92:93], s[24:25], v[32:33]
	v_fmac_f64_e32 v[50:51], s[22:23], v[32:33]
	v_fma_f64 v[26:27], s[42:43], v[128:129], v[30:31]
	v_fmac_f64_e32 v[30:31], s[30:31], v[128:129]
	v_fma_f64 v[32:33], s[0:1], v[124:125], v[36:37]
	v_fma_f64 v[36:37], v[124:125], s[0:1], -v[36:37]
	v_fma_f64 v[34:35], v[48:49], s[16:17], -v[34:35]
	v_add_f64 v[24:25], v[24:25], v[38:39]
	v_add_f64 v[30:31], v[30:31], v[44:45]
	;; [unrolled: 1-line block ×3, first 2 shown]
	v_mul_f64 v[38:39], v[126:127], s[0:1]
	v_add_f64 v[36:37], v[36:37], v[46:47]
	v_mul_f64 v[44:45], v[130:131], s[28:29]
	v_mul_f64 v[46:47], v[126:127], s[20:21]
	;; [unrolled: 1-line block ×3, first 2 shown]
	v_add_f64 v[94:95], v[94:95], v[118:119]
	v_add_f64 v[92:93], v[92:93], v[116:117]
	;; [unrolled: 1-line block ×4, first 2 shown]
	v_fma_f64 v[34:35], s[8:9], v[128:129], v[38:39]
	v_fmac_f64_e32 v[38:39], s[24:25], v[128:129]
	v_fma_f64 v[40:41], s[20:21], v[124:125], v[44:45]
	v_fma_f64 v[42:43], s[36:37], v[128:129], v[46:47]
	;; [unrolled: 1-line block ×3, first 2 shown]
	v_add_f64 v[34:35], v[34:35], v[64:65]
	v_add_f64 v[38:39], v[38:39], v[54:55]
	;; [unrolled: 1-line block ×4, first 2 shown]
	v_fma_f64 v[44:45], v[124:125], s[20:21], -v[44:45]
	v_fmac_f64_e32 v[46:47], s[28:29], v[128:129]
	v_add_f64 v[48:49], v[48:49], v[78:79]
	v_mul_f64 v[54:55], v[126:127], s[2:3]
	v_fma_f64 v[52:53], v[124:125], s[2:3], -v[52:53]
	v_mul_f64 v[64:65], v[130:131], s[22:23]
	v_mul_f64 v[66:67], v[126:127], s[16:17]
	;; [unrolled: 1-line block ×4, first 2 shown]
	v_add_f64 v[26:27], v[26:27], v[60:61]
	v_add_f64 v[44:45], v[44:45], v[62:63]
	;; [unrolled: 1-line block ×3, first 2 shown]
	v_fma_f64 v[50:51], s[14:15], v[128:129], v[54:55]
	v_add_f64 v[52:53], v[52:53], v[70:71]
	v_fmac_f64_e32 v[54:55], s[40:41], v[128:129]
	v_fma_f64 v[60:61], s[16:17], v[124:125], v[64:65]
	v_fma_f64 v[62:63], s[38:39], v[128:129], v[66:67]
	v_fma_f64 v[64:65], v[124:125], s[16:17], -v[64:65]
	v_fmac_f64_e32 v[66:67], s[22:23], v[128:129]
	v_fma_f64 v[68:69], s[12:13], v[124:125], v[76:77]
	v_fma_f64 v[70:71], s[18:19], v[128:129], v[78:79]
	v_fma_f64 v[76:77], v[124:125], s[12:13], -v[76:77]
	v_fmac_f64_e32 v[78:79], s[34:35], v[128:129]
	v_add_f64 v[50:51], v[50:51], v[88:89]
	v_add_f64 v[54:55], v[54:55], v[80:81]
	v_add_f64 v[60:61], v[60:61], v[90:91]
	v_add_f64 v[62:63], v[62:63], v[94:95]
	v_add_f64 v[64:65], v[64:65], v[82:83]
	v_add_f64 v[66:67], v[66:67], v[92:93]
	v_add_f64 v[68:69], v[68:69], v[100:101]
	v_add_f64 v[70:71], v[70:71], v[102:103]
	v_add_f64 v[76:77], v[76:77], v[116:117]
	v_add_f64 v[78:79], v[78:79], v[118:119]
	s_barrier
	ds_write_b128 v109, v[56:59]
	ds_write_b128 v109, v[24:27] offset:16
	ds_write_b128 v109, v[32:35] offset:32
	;; [unrolled: 1-line block ×12, first 2 shown]
	s_and_saveexec_b64 s[44:45], vcc
	s_cbranch_execz .LBB0_13
; %bb.12:
	v_accvgpr_write_b32 a90, v184
	v_accvgpr_write_b32 a91, v185
	;; [unrolled: 1-line block ×4, first 2 shown]
	v_mov_b32_e32 v109, v188
	v_accvgpr_read_b32 v189, a75
	v_accvgpr_read_b32 v188, a74
	;; [unrolled: 1-line block ×4, first 2 shown]
	v_accvgpr_write_b32 a78, v172
	v_accvgpr_write_b32 a72, v168
	;; [unrolled: 1-line block ×9, first 2 shown]
	v_accvgpr_read_b32 v173, a59
	v_accvgpr_write_b32 a86, v180
	v_accvgpr_write_b32 a83, v177
	;; [unrolled: 1-line block ×4, first 2 shown]
	v_accvgpr_read_b32 v177, a63
	v_accvgpr_read_b32 v171, a57
	;; [unrolled: 1-line block ×3, first 2 shown]
	v_accvgpr_write_b32 a87, v181
	v_accvgpr_write_b32 a88, v182
	;; [unrolled: 1-line block ×3, first 2 shown]
	v_accvgpr_read_b32 v181, a67
	v_accvgpr_read_b32 v175, a61
	;; [unrolled: 1-line block ×4, first 2 shown]
	v_add_f64 v[102:103], v[252:253], -v[170:171]
	v_accvgpr_read_b32 v185, a71
	v_accvgpr_read_b32 v179, a65
	;; [unrolled: 1-line block ×4, first 2 shown]
	v_add_f64 v[100:101], v[8:9], -v[174:175]
	v_mul_f64 v[44:45], v[102:103], s[30:31]
	v_add_f64 v[62:63], v[254:255], v[172:173]
	v_add_f64 v[126:127], v[254:255], -v[172:173]
	v_accvgpr_read_b32 v183, a69
	v_accvgpr_read_b32 v182, a68
	;; [unrolled: 1-line block ×3, first 2 shown]
	v_add_f64 v[94:95], v[12:13], -v[178:179]
	v_mul_f64 v[40:41], v[100:101], s[24:25]
	v_add_f64 v[60:61], v[10:11], v[176:177]
	v_fma_f64 v[46:47], s[26:27], v[62:63], v[44:45]
	v_add_f64 v[124:125], v[10:11], -v[176:177]
	v_add_f64 v[78:79], v[252:253], v[170:171]
	v_mul_f64 v[134:135], v[126:127], s[30:31]
	v_accvgpr_read_b32 v184, a70
	v_add_f64 v[92:93], v[4:5], -v[182:183]
	v_mul_f64 v[36:37], v[94:95], s[28:29]
	v_add_f64 v[58:59], v[14:15], v[180:181]
	v_fma_f64 v[42:43], s[0:1], v[60:61], v[40:41]
	v_add_f64 v[46:47], v[2:3], v[46:47]
	v_add_f64 v[118:119], v[14:15], -v[180:181]
	v_add_f64 v[76:77], v[8:9], v[174:175]
	v_mul_f64 v[130:131], v[124:125], s[24:25]
	v_fma_f64 v[136:137], v[78:79], s[26:27], -v[134:135]
	v_add_f64 v[82:83], v[16:17], -v[186:187]
	v_mul_f64 v[32:33], v[92:93], s[40:41]
	v_add_f64 v[56:57], v[6:7], v[184:185]
	v_fma_f64 v[38:39], s[20:21], v[58:59], v[36:37]
	v_add_f64 v[42:43], v[42:43], v[46:47]
	v_add_f64 v[116:117], v[6:7], -v[184:185]
	v_add_f64 v[70:71], v[12:13], v[178:179]
	v_mul_f64 v[50:51], v[118:119], s[28:29]
	v_fma_f64 v[132:133], v[76:77], s[0:1], -v[130:131]
	v_add_f64 v[136:137], v[0:1], v[136:137]
	v_add_f64 v[80:81], v[20:21], -v[248:249]
	v_mul_f64 v[30:31], v[82:83], s[22:23]
	v_add_f64 v[54:55], v[18:19], v[188:189]
	v_fma_f64 v[34:35], s[2:3], v[56:57], v[32:33]
	v_add_f64 v[38:39], v[38:39], v[42:43]
	v_add_f64 v[90:91], v[18:19], -v[188:189]
	v_add_f64 v[68:69], v[4:5], v[182:183]
	v_mul_f64 v[46:47], v[116:117], s[40:41]
	v_fma_f64 v[128:129], v[70:71], s[20:21], -v[50:51]
	v_add_f64 v[132:133], v[132:133], v[136:137]
	v_mul_f64 v[28:29], v[80:81], s[34:35]
	v_add_f64 v[52:53], v[22:23], v[250:251]
	v_fma_f64 v[26:27], s[16:17], v[54:55], v[30:31]
	v_add_f64 v[34:35], v[34:35], v[38:39]
	v_add_f64 v[88:89], v[22:23], -v[250:251]
	v_add_f64 v[66:67], v[16:17], v[186:187]
	v_mul_f64 v[38:39], v[90:91], s[22:23]
	v_fma_f64 v[48:49], v[68:69], s[2:3], -v[46:47]
	v_add_f64 v[128:129], v[128:129], v[132:133]
	v_fma_f64 v[24:25], s[12:13], v[52:53], v[28:29]
	v_add_f64 v[26:27], v[26:27], v[34:35]
	v_add_f64 v[64:65], v[20:21], v[248:249]
	v_mul_f64 v[34:35], v[88:89], s[34:35]
	v_fma_f64 v[42:43], v[66:67], s[16:17], -v[38:39]
	v_add_f64 v[48:49], v[48:49], v[128:129]
	v_add_f64 v[26:27], v[24:25], v[26:27]
	v_fma_f64 v[24:25], v[64:65], s[12:13], -v[34:35]
	v_add_f64 v[42:43], v[42:43], v[48:49]
	v_add_f64 v[24:25], v[24:25], v[42:43]
	v_fma_f64 v[42:43], v[62:63], s[26:27], -v[44:45]
	v_fma_f64 v[40:41], v[60:61], s[0:1], -v[40:41]
	v_add_f64 v[42:43], v[2:3], v[42:43]
	v_fma_f64 v[36:37], v[58:59], s[20:21], -v[36:37]
	v_add_f64 v[40:41], v[40:41], v[42:43]
	;; [unrolled: 2-line block ×5, first 2 shown]
	v_fmac_f64_e32 v[134:135], s[26:27], v[78:79]
	v_add_f64 v[30:31], v[28:29], v[30:31]
	v_fmac_f64_e32 v[130:131], s[0:1], v[76:77]
	v_add_f64 v[28:29], v[0:1], v[134:135]
	v_mul_f64 v[128:129], v[102:103], s[28:29]
	v_fmac_f64_e32 v[50:51], s[20:21], v[70:71]
	v_add_f64 v[28:29], v[130:131], v[28:29]
	v_mul_f64 v[48:49], v[100:101], s[34:35]
	v_fma_f64 v[130:131], s[20:21], v[62:63], v[128:129]
	v_mul_f64 v[142:143], v[126:127], s[28:29]
	v_fmac_f64_e32 v[46:47], s[2:3], v[68:69]
	v_add_f64 v[28:29], v[50:51], v[28:29]
	v_mul_f64 v[44:45], v[94:95], s[14:15]
	v_fma_f64 v[50:51], s[12:13], v[60:61], v[48:49]
	v_add_f64 v[130:131], v[2:3], v[130:131]
	v_mul_f64 v[138:139], v[124:125], s[34:35]
	v_fma_f64 v[144:145], v[78:79], s[20:21], -v[142:143]
	v_fmac_f64_e32 v[38:39], s[16:17], v[66:67]
	v_add_f64 v[28:29], v[46:47], v[28:29]
	v_mul_f64 v[40:41], v[92:93], s[42:43]
	v_fma_f64 v[46:47], s[2:3], v[58:59], v[44:45]
	v_add_f64 v[50:51], v[50:51], v[130:131]
	v_mul_f64 v[134:135], v[118:119], s[14:15]
	v_fma_f64 v[140:141], v[76:77], s[12:13], -v[138:139]
	v_add_f64 v[144:145], v[0:1], v[144:145]
	v_fmac_f64_e32 v[34:35], s[12:13], v[64:65]
	v_add_f64 v[28:29], v[38:39], v[28:29]
	v_mul_f64 v[38:39], v[82:83], s[24:25]
	v_fma_f64 v[42:43], s[26:27], v[56:57], v[40:41]
	v_add_f64 v[46:47], v[46:47], v[50:51]
	v_mul_f64 v[130:131], v[116:117], s[42:43]
	v_fma_f64 v[136:137], v[70:71], s[2:3], -v[134:135]
	v_add_f64 v[140:141], v[140:141], v[144:145]
	v_add_f64 v[28:29], v[34:35], v[28:29]
	v_mul_f64 v[36:37], v[80:81], s[22:23]
	v_fma_f64 v[34:35], s[0:1], v[54:55], v[38:39]
	v_add_f64 v[42:43], v[42:43], v[46:47]
	v_mul_f64 v[46:47], v[90:91], s[24:25]
	v_fma_f64 v[132:133], v[68:69], s[26:27], -v[130:131]
	v_add_f64 v[136:137], v[136:137], v[140:141]
	v_fma_f64 v[32:33], s[16:17], v[52:53], v[36:37]
	v_add_f64 v[34:35], v[34:35], v[42:43]
	v_mul_f64 v[42:43], v[88:89], s[22:23]
	v_fma_f64 v[50:51], v[66:67], s[0:1], -v[46:47]
	v_add_f64 v[132:133], v[132:133], v[136:137]
	v_add_f64 v[34:35], v[32:33], v[34:35]
	v_fma_f64 v[32:33], v[64:65], s[16:17], -v[42:43]
	v_add_f64 v[50:51], v[50:51], v[132:133]
	v_add_f64 v[32:33], v[32:33], v[50:51]
	v_fma_f64 v[50:51], v[62:63], s[20:21], -v[128:129]
	v_fma_f64 v[48:49], v[60:61], s[12:13], -v[48:49]
	v_add_f64 v[50:51], v[2:3], v[50:51]
	v_fma_f64 v[44:45], v[58:59], s[2:3], -v[44:45]
	v_add_f64 v[48:49], v[48:49], v[50:51]
	v_fma_f64 v[40:41], v[56:57], s[26:27], -v[40:41]
	v_add_f64 v[44:45], v[44:45], v[48:49]
	v_fma_f64 v[38:39], v[54:55], s[0:1], -v[38:39]
	v_add_f64 v[40:41], v[40:41], v[44:45]
	v_fma_f64 v[36:37], v[52:53], s[16:17], -v[36:37]
	v_add_f64 v[38:39], v[38:39], v[40:41]
	v_fmac_f64_e32 v[142:143], s[20:21], v[78:79]
	v_add_f64 v[38:39], v[36:37], v[38:39]
	v_fmac_f64_e32 v[138:139], s[12:13], v[76:77]
	v_add_f64 v[36:37], v[0:1], v[142:143]
	v_mul_f64 v[136:137], v[102:103], s[22:23]
	v_fmac_f64_e32 v[134:135], s[2:3], v[70:71]
	v_add_f64 v[36:37], v[138:139], v[36:37]
	v_mul_f64 v[132:133], v[100:101], s[36:37]
	v_fma_f64 v[138:139], s[16:17], v[62:63], v[136:137]
	v_mul_f64 v[150:151], v[126:127], s[22:23]
	v_accvgpr_write_b32 a56, v152
	v_fmac_f64_e32 v[130:131], s[26:27], v[68:69]
	v_add_f64 v[36:37], v[134:135], v[36:37]
	v_mul_f64 v[128:129], v[94:95], s[24:25]
	v_fma_f64 v[134:135], s[20:21], v[60:61], v[132:133]
	v_add_f64 v[138:139], v[2:3], v[138:139]
	v_mul_f64 v[146:147], v[124:125], s[36:37]
	v_accvgpr_write_b32 a57, v153
	v_accvgpr_write_b32 a58, v154
	v_accvgpr_write_b32 a59, v155
	v_fma_f64 v[152:153], v[78:79], s[16:17], -v[150:151]
	v_fmac_f64_e32 v[46:47], s[0:1], v[66:67]
	v_add_f64 v[36:37], v[130:131], v[36:37]
	v_mul_f64 v[48:49], v[92:93], s[18:19]
	v_fma_f64 v[130:131], s[0:1], v[58:59], v[128:129]
	v_add_f64 v[134:135], v[134:135], v[138:139]
	v_mul_f64 v[142:143], v[118:119], s[24:25]
	v_fma_f64 v[148:149], v[76:77], s[20:21], -v[146:147]
	v_add_f64 v[152:153], v[0:1], v[152:153]
	v_fmac_f64_e32 v[42:43], s[16:17], v[64:65]
	v_add_f64 v[36:37], v[46:47], v[36:37]
	v_mul_f64 v[46:47], v[82:83], s[42:43]
	v_fma_f64 v[50:51], s[12:13], v[56:57], v[48:49]
	v_add_f64 v[130:131], v[130:131], v[134:135]
	v_mul_f64 v[138:139], v[116:117], s[18:19]
	v_fma_f64 v[144:145], v[70:71], s[0:1], -v[142:143]
	v_add_f64 v[148:149], v[148:149], v[152:153]
	v_add_f64 v[36:37], v[42:43], v[36:37]
	v_mul_f64 v[44:45], v[80:81], s[40:41]
	v_fma_f64 v[42:43], s[26:27], v[54:55], v[46:47]
	v_add_f64 v[50:51], v[50:51], v[130:131]
	v_mul_f64 v[130:131], v[90:91], s[42:43]
	v_fma_f64 v[140:141], v[68:69], s[12:13], -v[138:139]
	v_add_f64 v[144:145], v[144:145], v[148:149]
	v_fma_f64 v[40:41], s[2:3], v[52:53], v[44:45]
	v_add_f64 v[42:43], v[42:43], v[50:51]
	v_mul_f64 v[50:51], v[88:89], s[40:41]
	v_fma_f64 v[134:135], v[66:67], s[26:27], -v[130:131]
	v_add_f64 v[140:141], v[140:141], v[144:145]
	v_add_f64 v[42:43], v[40:41], v[42:43]
	v_fma_f64 v[40:41], v[64:65], s[2:3], -v[50:51]
	v_add_f64 v[134:135], v[134:135], v[140:141]
	v_add_f64 v[40:41], v[40:41], v[134:135]
	v_fma_f64 v[134:135], v[62:63], s[16:17], -v[136:137]
	v_fma_f64 v[132:133], v[60:61], s[20:21], -v[132:133]
	v_add_f64 v[134:135], v[2:3], v[134:135]
	v_fma_f64 v[128:129], v[58:59], s[0:1], -v[128:129]
	v_add_f64 v[132:133], v[132:133], v[134:135]
	;; [unrolled: 2-line block ×5, first 2 shown]
	v_fmac_f64_e32 v[150:151], s[16:17], v[78:79]
	v_add_f64 v[46:47], v[44:45], v[46:47]
	v_fmac_f64_e32 v[146:147], s[20:21], v[76:77]
	v_add_f64 v[44:45], v[0:1], v[150:151]
	v_mul_f64 v[144:145], v[102:103], s[18:19]
	v_accvgpr_write_b32 a60, v156
	v_fmac_f64_e32 v[142:143], s[0:1], v[70:71]
	v_add_f64 v[44:45], v[146:147], v[44:45]
	v_mul_f64 v[140:141], v[100:101], s[30:31]
	v_fma_f64 v[146:147], s[12:13], v[62:63], v[144:145]
	v_accvgpr_write_b32 a61, v157
	v_accvgpr_write_b32 a62, v158
	;; [unrolled: 1-line block ×3, first 2 shown]
	v_mul_f64 v[158:159], v[126:127], s[18:19]
	v_accvgpr_write_b32 a64, v160
	v_fmac_f64_e32 v[138:139], s[12:13], v[68:69]
	v_add_f64 v[44:45], v[142:143], v[44:45]
	v_mul_f64 v[136:137], v[94:95], s[38:39]
	v_fma_f64 v[142:143], s[26:27], v[60:61], v[140:141]
	v_add_f64 v[146:147], v[2:3], v[146:147]
	v_mul_f64 v[154:155], v[124:125], s[30:31]
	v_accvgpr_write_b32 a65, v161
	v_accvgpr_write_b32 a66, v162
	;; [unrolled: 1-line block ×3, first 2 shown]
	v_fma_f64 v[160:161], v[78:79], s[12:13], -v[158:159]
	v_fmac_f64_e32 v[130:131], s[26:27], v[66:67]
	v_add_f64 v[44:45], v[138:139], v[44:45]
	v_mul_f64 v[132:133], v[92:93], s[24:25]
	v_fma_f64 v[138:139], s[16:17], v[58:59], v[136:137]
	v_add_f64 v[142:143], v[142:143], v[146:147]
	v_mul_f64 v[150:151], v[118:119], s[38:39]
	v_fma_f64 v[156:157], v[76:77], s[26:27], -v[154:155]
	v_add_f64 v[160:161], v[0:1], v[160:161]
	v_fmac_f64_e32 v[50:51], s[2:3], v[64:65]
	v_add_f64 v[44:45], v[130:131], v[44:45]
	v_mul_f64 v[130:131], v[82:83], s[14:15]
	v_fma_f64 v[134:135], s[0:1], v[56:57], v[132:133]
	v_add_f64 v[138:139], v[138:139], v[142:143]
	v_mul_f64 v[146:147], v[116:117], s[24:25]
	v_fma_f64 v[152:153], v[70:71], s[16:17], -v[150:151]
	v_add_f64 v[156:157], v[156:157], v[160:161]
	v_add_f64 v[44:45], v[50:51], v[44:45]
	v_mul_f64 v[128:129], v[80:81], s[28:29]
	v_fma_f64 v[50:51], s[2:3], v[54:55], v[130:131]
	v_add_f64 v[134:135], v[134:135], v[138:139]
	v_mul_f64 v[138:139], v[90:91], s[14:15]
	v_fma_f64 v[148:149], v[68:69], s[0:1], -v[146:147]
	v_add_f64 v[152:153], v[152:153], v[156:157]
	v_fma_f64 v[48:49], s[20:21], v[52:53], v[128:129]
	v_add_f64 v[50:51], v[50:51], v[134:135]
	v_mul_f64 v[134:135], v[88:89], s[28:29]
	v_fma_f64 v[142:143], v[66:67], s[2:3], -v[138:139]
	v_add_f64 v[148:149], v[148:149], v[152:153]
	v_add_f64 v[50:51], v[48:49], v[50:51]
	v_fma_f64 v[48:49], v[64:65], s[20:21], -v[134:135]
	v_add_f64 v[142:143], v[142:143], v[148:149]
	v_add_f64 v[48:49], v[48:49], v[142:143]
	v_fma_f64 v[142:143], v[62:63], s[12:13], -v[144:145]
	v_fma_f64 v[140:141], v[60:61], s[26:27], -v[140:141]
	v_add_f64 v[142:143], v[2:3], v[142:143]
	v_fma_f64 v[136:137], v[58:59], s[16:17], -v[136:137]
	v_add_f64 v[140:141], v[140:141], v[142:143]
	;; [unrolled: 2-line block ×5, first 2 shown]
	v_fmac_f64_e32 v[158:159], s[12:13], v[78:79]
	v_add_f64 v[130:131], v[128:129], v[130:131]
	v_fmac_f64_e32 v[154:155], s[26:27], v[76:77]
	v_add_f64 v[128:129], v[0:1], v[158:159]
	v_mul_f64 v[152:153], v[102:103], s[14:15]
	v_accvgpr_write_b32 a68, v164
	v_fmac_f64_e32 v[150:151], s[16:17], v[70:71]
	v_add_f64 v[128:129], v[154:155], v[128:129]
	v_mul_f64 v[148:149], v[100:101], s[22:23]
	v_fma_f64 v[154:155], s[2:3], v[62:63], v[152:153]
	v_accvgpr_write_b32 a69, v165
	v_accvgpr_write_b32 a70, v166
	;; [unrolled: 1-line block ×3, first 2 shown]
	v_mul_f64 v[166:167], v[126:127], s[14:15]
	v_fmac_f64_e32 v[146:147], s[0:1], v[68:69]
	v_add_f64 v[128:129], v[150:151], v[128:129]
	v_mul_f64 v[144:145], v[94:95], s[30:31]
	v_fma_f64 v[150:151], s[16:17], v[60:61], v[148:149]
	v_add_f64 v[154:155], v[2:3], v[154:155]
	v_mul_f64 v[162:163], v[124:125], s[22:23]
	v_fma_f64 v[168:169], v[78:79], s[2:3], -v[166:167]
	v_fmac_f64_e32 v[138:139], s[2:3], v[66:67]
	v_add_f64 v[128:129], v[146:147], v[128:129]
	v_mul_f64 v[140:141], v[92:93], s[36:37]
	v_fma_f64 v[146:147], s[26:27], v[58:59], v[144:145]
	v_add_f64 v[150:151], v[150:151], v[154:155]
	v_mul_f64 v[158:159], v[118:119], s[30:31]
	v_fma_f64 v[164:165], v[76:77], s[16:17], -v[162:163]
	v_add_f64 v[168:169], v[0:1], v[168:169]
	v_fmac_f64_e32 v[134:135], s[20:21], v[64:65]
	v_add_f64 v[128:129], v[138:139], v[128:129]
	v_mul_f64 v[138:139], v[82:83], s[34:35]
	v_fma_f64 v[142:143], s[20:21], v[56:57], v[140:141]
	v_add_f64 v[146:147], v[146:147], v[150:151]
	v_mul_f64 v[154:155], v[116:117], s[36:37]
	v_fma_f64 v[160:161], v[70:71], s[26:27], -v[158:159]
	v_add_f64 v[164:165], v[164:165], v[168:169]
	v_add_f64 v[128:129], v[134:135], v[128:129]
	v_mul_f64 v[136:137], v[80:81], s[24:25]
	v_fma_f64 v[134:135], s[12:13], v[54:55], v[138:139]
	v_add_f64 v[142:143], v[142:143], v[146:147]
	v_mul_f64 v[146:147], v[90:91], s[34:35]
	v_fma_f64 v[156:157], v[68:69], s[20:21], -v[154:155]
	v_add_f64 v[160:161], v[160:161], v[164:165]
	v_fma_f64 v[132:133], s[0:1], v[52:53], v[136:137]
	v_add_f64 v[134:135], v[134:135], v[142:143]
	v_mul_f64 v[142:143], v[88:89], s[24:25]
	v_fma_f64 v[150:151], v[66:67], s[12:13], -v[146:147]
	v_add_f64 v[156:157], v[156:157], v[160:161]
	v_add_f64 v[134:135], v[132:133], v[134:135]
	v_fma_f64 v[132:133], v[64:65], s[0:1], -v[142:143]
	v_add_f64 v[150:151], v[150:151], v[156:157]
	v_add_f64 v[132:133], v[132:133], v[150:151]
	v_fma_f64 v[150:151], v[62:63], s[2:3], -v[152:153]
	v_fma_f64 v[148:149], v[60:61], s[16:17], -v[148:149]
	v_add_f64 v[150:151], v[2:3], v[150:151]
	v_fma_f64 v[144:145], v[58:59], s[26:27], -v[144:145]
	v_add_f64 v[148:149], v[148:149], v[150:151]
	;; [unrolled: 2-line block ×5, first 2 shown]
	v_fmac_f64_e32 v[166:167], s[2:3], v[78:79]
	v_add_f64 v[138:139], v[136:137], v[138:139]
	v_fmac_f64_e32 v[162:163], s[16:17], v[76:77]
	v_add_f64 v[136:137], v[0:1], v[166:167]
	;; [unrolled: 2-line block ×3, first 2 shown]
	v_mul_f64 v[102:103], v[102:103], s[8:9]
	v_fmac_f64_e32 v[154:155], s[20:21], v[68:69]
	v_add_f64 v[136:137], v[158:159], v[136:137]
	v_mul_f64 v[100:101], v[100:101], s[14:15]
	v_fma_f64 v[150:151], s[0:1], v[62:63], v[102:103]
	v_fma_f64 v[62:63], v[62:63], s[0:1], -v[102:103]
	v_fmac_f64_e32 v[146:147], s[12:13], v[66:67]
	v_add_f64 v[136:137], v[154:155], v[136:137]
	v_mul_f64 v[94:95], v[94:95], s[18:19]
	v_fma_f64 v[148:149], s[2:3], v[60:61], v[100:101]
	v_fma_f64 v[60:61], v[60:61], s[2:3], -v[100:101]
	v_add_f64 v[62:63], v[2:3], v[62:63]
	v_fmac_f64_e32 v[142:143], s[0:1], v[64:65]
	v_add_f64 v[136:137], v[146:147], v[136:137]
	v_mul_f64 v[92:93], v[92:93], s[22:23]
	v_fma_f64 v[146:147], s[12:13], v[58:59], v[94:95]
	v_fma_f64 v[58:59], v[58:59], s[12:13], -v[94:95]
	v_add_f64 v[60:61], v[60:61], v[62:63]
	v_add_f64 v[136:137], v[142:143], v[136:137]
	v_mul_f64 v[142:143], v[82:83], s[28:29]
	v_fma_f64 v[144:145], s[16:17], v[56:57], v[92:93]
	v_fma_f64 v[56:57], v[56:57], s[16:17], -v[92:93]
	v_add_f64 v[58:59], v[58:59], v[60:61]
	v_mul_f64 v[140:141], v[80:81], s[30:31]
	v_fma_f64 v[82:83], s[20:21], v[54:55], v[142:143]
	v_mul_f64 v[126:127], v[126:127], s[8:9]
	v_fma_f64 v[54:55], v[54:55], s[20:21], -v[142:143]
	v_add_f64 v[56:57], v[56:57], v[58:59]
	v_fma_f64 v[80:81], s[26:27], v[52:53], v[140:141]
	v_fma_f64 v[152:153], v[78:79], s[0:1], -v[126:127]
	v_fma_f64 v[52:53], v[52:53], s[26:27], -v[140:141]
	v_add_f64 v[54:55], v[54:55], v[56:57]
	v_fmac_f64_e32 v[126:127], s[0:1], v[78:79]
	v_add_f64 v[150:151], v[2:3], v[150:151]
	v_add_f64 v[152:153], v[0:1], v[152:153]
	;; [unrolled: 1-line block ×18, first 2 shown]
	v_mul_f64 v[124:125], v[124:125], s[14:15]
	v_add_f64 v[2:3], v[2:3], v[188:189]
	v_add_f64 v[0:1], v[0:1], v[186:187]
	;; [unrolled: 1-line block ×3, first 2 shown]
	v_mul_f64 v[118:119], v[118:119], s[18:19]
	v_fma_f64 v[150:151], v[76:77], s[2:3], -v[124:125]
	v_fmac_f64_e32 v[124:125], s[2:3], v[76:77]
	v_add_f64 v[2:3], v[2:3], v[184:185]
	v_add_f64 v[0:1], v[0:1], v[182:183]
	;; [unrolled: 1-line block ×3, first 2 shown]
	v_mul_f64 v[116:117], v[116:117], s[22:23]
	v_fma_f64 v[148:149], v[70:71], s[12:13], -v[118:119]
	v_add_f64 v[150:151], v[150:151], v[152:153]
	v_fmac_f64_e32 v[118:119], s[12:13], v[70:71]
	v_add_f64 v[52:53], v[124:125], v[52:53]
	v_add_f64 v[2:3], v[2:3], v[180:181]
	v_add_f64 v[0:1], v[0:1], v[178:179]
	v_add_f64 v[144:145], v[144:145], v[146:147]
	v_mul_f64 v[90:91], v[90:91], s[28:29]
	v_fma_f64 v[146:147], v[68:69], s[16:17], -v[116:117]
	v_add_f64 v[148:149], v[148:149], v[150:151]
	v_fmac_f64_e32 v[116:117], s[16:17], v[68:69]
	v_add_f64 v[52:53], v[118:119], v[52:53]
	v_add_f64 v[2:3], v[2:3], v[176:177]
	;; [unrolled: 1-line block ×3, first 2 shown]
	v_accvgpr_read_b32 v167, a71
	v_accvgpr_read_b32 v163, a67
	;; [unrolled: 1-line block ×3, first 2 shown]
	v_add_f64 v[82:83], v[82:83], v[144:145]
	v_mul_f64 v[88:89], v[88:89], s[30:31]
	v_fma_f64 v[144:145], v[66:67], s[20:21], -v[90:91]
	v_accvgpr_read_b32 v155, a59
	v_add_f64 v[146:147], v[146:147], v[148:149]
	v_fmac_f64_e32 v[90:91], s[20:21], v[66:67]
	v_add_f64 v[52:53], v[116:117], v[52:53]
	v_add_f64 v[2:3], v[2:3], v[172:173]
	v_accvgpr_read_b32 v187, a93
	v_accvgpr_read_b32 v183, a89
	;; [unrolled: 1-line block ×4, first 2 shown]
	v_add_f64 v[0:1], v[0:1], v[170:171]
	v_accvgpr_read_b32 v171, a75
	v_accvgpr_read_b32 v4, a3
	;; [unrolled: 1-line block ×11, first 2 shown]
	v_add_f64 v[82:83], v[80:81], v[82:83]
	v_fma_f64 v[80:81], v[64:65], s[26:27], -v[88:89]
	v_accvgpr_read_b32 v154, a58
	v_accvgpr_read_b32 v153, a57
	;; [unrolled: 1-line block ×3, first 2 shown]
	v_add_f64 v[144:145], v[144:145], v[146:147]
	v_fmac_f64_e32 v[88:89], s[26:27], v[64:65]
	v_add_f64 v[52:53], v[90:91], v[52:53]
	v_mov_b32_e32 v188, v109
	v_accvgpr_read_b32 v186, a92
	v_accvgpr_read_b32 v185, a91
	;; [unrolled: 1-line block ×15, first 2 shown]
	v_lshlrev_b32_e32 v4, 4, v4
	v_add_f64 v[80:81], v[80:81], v[144:145]
	v_add_f64 v[52:53], v[88:89], v[52:53]
	ds_write_b128 v4, v[0:3]
	ds_write_b128 v4, v[52:55] offset:16
	ds_write_b128 v4, v[136:139] offset:32
	;; [unrolled: 1-line block ×12, first 2 shown]
.LBB0_13:
	s_or_b64 exec, exec, s[44:45]
	s_waitcnt lgkmcnt(0)
	s_barrier
	ds_read_b128 v[4:7], v108 offset:4368
	ds_read_b128 v[0:3], v108 offset:2912
	v_accvgpr_read_b32 v32, a94
	v_accvgpr_read_b32 v34, a96
	;; [unrolled: 1-line block ×3, first 2 shown]
	s_waitcnt lgkmcnt(1)
	v_mul_f64 v[92:93], v[166:167], v[6:7]
	v_fmac_f64_e32 v[92:93], v[164:165], v[4:5]
	v_mul_f64 v[4:5], v[166:167], v[4:5]
	v_fma_f64 v[94:95], v[164:165], v[6:7], -v[4:5]
	ds_read_b128 v[4:7], v108 offset:8736
	ds_read_b128 v[8:11], v108 offset:10192
	v_accvgpr_read_b32 v33, a95
	s_mov_b32 s0, 0xaaaaaaaa
	s_mov_b32 s24, 0x37e14327
	s_waitcnt lgkmcnt(1)
	v_mul_f64 v[100:101], v[162:163], v[6:7]
	v_fmac_f64_e32 v[100:101], v[160:161], v[4:5]
	v_mul_f64 v[4:5], v[162:163], v[4:5]
	v_fma_f64 v[102:103], v[160:161], v[6:7], -v[4:5]
	ds_read_b128 v[4:7], v108 offset:13104
	ds_read_b128 v[12:15], v108 offset:11648
	s_waitcnt lgkmcnt(2)
	v_mul_f64 v[40:41], v[186:187], v[10:11]
	v_fmac_f64_e32 v[40:41], v[184:185], v[8:9]
	s_mov_b32 s1, 0xbff2aaaa
	s_waitcnt lgkmcnt(1)
	v_mul_f64 v[116:117], v[158:159], v[6:7]
	v_fmac_f64_e32 v[116:117], v[156:157], v[4:5]
	v_mul_f64 v[4:5], v[158:159], v[4:5]
	v_fma_f64 v[118:119], v[156:157], v[6:7], -v[4:5]
	ds_read_b128 v[4:7], v108 offset:17472
	ds_read_b128 v[16:19], v108 offset:18928
	s_mov_b32 s2, 0x36b3c0b5
	s_mov_b32 s14, 0xe976ee23
	s_mov_b32 s8, 0x429ad128
	s_waitcnt lgkmcnt(1)
	v_mul_f64 v[124:125], v[154:155], v[6:7]
	v_fmac_f64_e32 v[124:125], v[152:153], v[4:5]
	v_mul_f64 v[4:5], v[154:155], v[4:5]
	v_fma_f64 v[126:127], v[152:153], v[6:7], -v[4:5]
	ds_read_b128 v[4:7], v108 offset:21840
	ds_read_b128 v[20:23], v108 offset:20384
	s_waitcnt lgkmcnt(2)
	v_mul_f64 v[48:49], v[178:179], v[18:19]
	v_fmac_f64_e32 v[48:49], v[176:177], v[16:17]
	s_mov_b32 s12, 0x5476071b
	s_waitcnt lgkmcnt(1)
	v_mul_f64 v[128:129], v[174:175], v[6:7]
	v_fmac_f64_e32 v[128:129], v[172:173], v[4:5]
	v_mul_f64 v[4:5], v[174:175], v[4:5]
	v_fma_f64 v[130:131], v[172:173], v[6:7], -v[4:5]
	ds_read_b128 v[4:7], v108 offset:26208
	ds_read_b128 v[24:27], v108 offset:27664
	s_mov_b32 s25, 0x3fe948f6
	s_mov_b32 s3, 0x3fac98ee
	;; [unrolled: 1-line block ×3, first 2 shown]
	s_waitcnt lgkmcnt(1)
	v_mul_f64 v[132:133], v[170:171], v[6:7]
	v_fmac_f64_e32 v[132:133], v[168:169], v[4:5]
	v_mul_f64 v[4:5], v[170:171], v[4:5]
	v_fma_f64 v[134:135], v[168:169], v[6:7], -v[4:5]
	ds_read_b128 v[4:7], v108 offset:5824
	ds_read_b128 v[28:31], v108 offset:7280
	s_mov_b32 s9, 0xbfebfeb5
	s_mov_b32 s13, 0x3fe77f67
	s_mov_b32 s23, 0xbfe77f67
	s_waitcnt lgkmcnt(1)
	v_mul_f64 v[36:37], v[34:35], v[6:7]
	v_fmac_f64_e32 v[36:37], v[32:33], v[4:5]
	v_mul_f64 v[4:5], v[34:35], v[4:5]
	v_fma_f64 v[38:39], v[32:33], v[6:7], -v[4:5]
	v_mul_f64 v[4:5], v[186:187], v[8:9]
	v_fma_f64 v[42:43], v[184:185], v[10:11], -v[4:5]
	ds_read_b128 v[4:7], v108 offset:14560
	ds_read_b128 v[8:11], v108 offset:16016
	v_accvgpr_read_b32 v32, a126
	v_accvgpr_read_b32 v34, a128
	;; [unrolled: 1-line block ×3, first 2 shown]
	s_waitcnt lgkmcnt(1)
	v_mul_f64 v[44:45], v[182:183], v[6:7]
	v_fmac_f64_e32 v[44:45], v[180:181], v[4:5]
	v_mul_f64 v[4:5], v[182:183], v[4:5]
	v_fma_f64 v[46:47], v[180:181], v[6:7], -v[4:5]
	v_mul_f64 v[4:5], v[178:179], v[16:17]
	v_fma_f64 v[50:51], v[176:177], v[18:19], -v[4:5]
	ds_read_b128 v[4:7], v108 offset:23296
	ds_read_b128 v[16:19], v108 offset:24752
	v_accvgpr_read_b32 v33, a127
	s_mov_b32 s22, s12
	s_mov_b32 s20, 0xb247c609
	s_waitcnt lgkmcnt(1)
	v_mul_f64 v[52:53], v[34:35], v[6:7]
	v_fmac_f64_e32 v[52:53], v[32:33], v[4:5]
	v_mul_f64 v[4:5], v[34:35], v[4:5]
	v_fma_f64 v[54:55], v[32:33], v[6:7], -v[4:5]
	v_accvgpr_read_b32 v32, a114
	v_accvgpr_read_b32 v34, a116
	v_accvgpr_read_b32 v35, a117
	v_accvgpr_read_b32 v33, a115
	v_mul_f64 v[88:89], v[34:35], v[26:27]
	v_mul_f64 v[4:5], v[34:35], v[24:25]
	v_fmac_f64_e32 v[88:89], v[32:33], v[24:25]
	v_fma_f64 v[90:91], v[32:33], v[26:27], -v[4:5]
	v_accvgpr_read_b32 v24, a142
	v_accvgpr_read_b32 v26, a144
	v_accvgpr_read_b32 v27, a145
	v_accvgpr_read_b32 v25, a143
	v_mul_f64 v[56:57], v[26:27], v[30:31]
	v_mul_f64 v[4:5], v[26:27], v[28:29]
	v_fmac_f64_e32 v[56:57], v[24:25], v[28:29]
	;; [unrolled: 8-line block ×3, first 2 shown]
	v_fma_f64 v[62:63], v[24:25], v[14:15], -v[4:5]
	v_accvgpr_read_b32 v12, a130
	v_accvgpr_read_b32 v14, a132
	;; [unrolled: 1-line block ×4, first 2 shown]
	v_mul_f64 v[64:65], v[14:15], v[10:11]
	v_fmac_f64_e32 v[64:65], v[12:13], v[8:9]
	v_mul_f64 v[4:5], v[14:15], v[8:9]
	v_accvgpr_read_b32 v6, a118
	v_accvgpr_read_b32 v8, a120
	;; [unrolled: 1-line block ×3, first 2 shown]
	v_fma_f64 v[66:67], v[12:13], v[10:11], -v[4:5]
	v_accvgpr_read_b32 v7, a119
	v_mul_f64 v[68:69], v[8:9], v[22:23]
	v_mul_f64 v[4:5], v[8:9], v[20:21]
	v_fmac_f64_e32 v[68:69], v[6:7], v[20:21]
	v_fma_f64 v[70:71], v[6:7], v[22:23], -v[4:5]
	v_accvgpr_read_b32 v6, a134
	v_accvgpr_read_b32 v8, a136
	;; [unrolled: 1-line block ×4, first 2 shown]
	s_waitcnt lgkmcnt(0)
	v_mul_f64 v[76:77], v[8:9], v[18:19]
	v_mul_f64 v[4:5], v[8:9], v[16:17]
	v_fmac_f64_e32 v[76:77], v[6:7], v[16:17]
	v_fma_f64 v[78:79], v[6:7], v[18:19], -v[4:5]
	ds_read_b128 v[4:7], v108 offset:29120
	v_accvgpr_read_b32 v8, a122
	v_accvgpr_read_b32 v10, a124
	;; [unrolled: 1-line block ×4, first 2 shown]
	s_waitcnt lgkmcnt(0)
	v_mul_f64 v[80:81], v[10:11], v[6:7]
	v_fmac_f64_e32 v[80:81], v[8:9], v[4:5]
	v_mul_f64 v[4:5], v[10:11], v[4:5]
	v_fma_f64 v[82:83], v[8:9], v[6:7], -v[4:5]
	v_add_f64 v[16:17], v[92:93], v[132:133]
	v_add_f64 v[8:9], v[100:101], v[128:129]
	;; [unrolled: 1-line block ×10, first 2 shown]
	ds_read_b128 v[4:7], v108
	ds_read_b128 v[32:35], v108 offset:1456
	v_add_f64 v[24:25], v[92:93], -v[132:133]
	v_add_f64 v[26:27], v[94:95], -v[134:135]
	;; [unrolled: 1-line block ×3, first 2 shown]
	s_waitcnt lgkmcnt(1)
	v_add_f64 v[4:5], v[4:5], v[10:11]
	v_add_f64 v[6:7], v[6:7], v[14:15]
	v_add_f64 v[30:31], v[102:103], -v[130:131]
	v_add_f64 v[92:93], v[124:125], -v[116:117]
	;; [unrolled: 1-line block ×3, first 2 shown]
	v_mov_b64_e32 v[100:101], v[4:5]
	v_mov_b64_e32 v[102:103], v[6:7]
	v_add_f64 v[116:117], v[8:9], -v[16:17]
	v_add_f64 v[124:125], v[12:13], -v[18:19]
	;; [unrolled: 1-line block ×4, first 2 shown]
	v_fmac_f64_e32 v[100:101], s[0:1], v[10:11]
	v_fmac_f64_e32 v[102:103], s[0:1], v[14:15]
	v_add_f64 v[118:119], v[20:21], -v[8:9]
	v_add_f64 v[126:127], v[22:23], -v[12:13]
	v_add_f64 v[8:9], v[92:93], v[28:29]
	v_add_f64 v[10:11], v[92:93], -v[28:29]
	v_add_f64 v[28:29], v[28:29], -v[24:25]
	v_add_f64 v[12:13], v[94:95], v[30:31]
	v_add_f64 v[14:15], v[94:95], -v[30:31]
	v_add_f64 v[30:31], v[30:31], -v[26:27]
	;; [unrolled: 1-line block ×4, first 2 shown]
	v_mul_f64 v[92:93], v[16:17], s[24:25]
	v_mul_f64 v[94:95], v[18:19], s[24:25]
	v_add_f64 v[128:129], v[8:9], v[24:25]
	v_add_f64 v[130:131], v[12:13], v[26:27]
	v_mul_f64 v[132:133], v[10:11], s[14:15]
	v_mul_f64 v[134:135], v[14:15], s[14:15]
	;; [unrolled: 1-line block ×6, first 2 shown]
	v_fma_f64 v[24:25], v[116:117], s[22:23], -v[92:93]
	v_fma_f64 v[26:27], v[124:125], s[22:23], -v[94:95]
	s_mov_b32 s21, 0xbfd5d0dc
	s_mov_b32 s19, 0x3fd5d0dc
	;; [unrolled: 1-line block ×3, first 2 shown]
	v_fmac_f64_e32 v[92:93], s[2:3], v[118:119]
	v_fmac_f64_e32 v[94:95], s[2:3], v[126:127]
	v_fma_f64 v[8:9], v[116:117], s[12:13], -v[8:9]
	v_fma_f64 v[10:11], v[124:125], s[12:13], -v[10:11]
	;; [unrolled: 1-line block ×6, first 2 shown]
	v_fmac_f64_e32 v[132:133], s[20:21], v[20:21]
	v_fmac_f64_e32 v[134:135], s[20:21], v[22:23]
	v_add_f64 v[20:21], v[92:93], v[100:101]
	v_add_f64 v[22:23], v[94:95], v[102:103]
	;; [unrolled: 1-line block ×15, first 2 shown]
	s_mov_b32 s16, 0x37c3f68c
	v_add_f64 v[126:127], v[124:125], v[126:127]
	s_waitcnt lgkmcnt(0)
	v_add_f64 v[32:33], v[32:33], v[102:103]
	s_mov_b32 s17, 0xbfdc38aa
	v_add_f64 v[34:35], v[34:35], v[126:127]
	v_add_f64 v[88:89], v[36:37], -v[88:89]
	v_add_f64 v[90:91], v[38:39], -v[90:91]
	;; [unrolled: 1-line block ×6, first 2 shown]
	v_mov_b64_e32 v[48:49], v[32:33]
	v_fmac_f64_e32 v[136:137], s[16:17], v[128:129]
	v_fmac_f64_e32 v[28:29], s[16:17], v[128:129]
	;; [unrolled: 1-line block ×5, first 2 shown]
	v_mov_b64_e32 v[50:51], v[34:35]
	v_add_f64 v[52:53], v[94:95], -v[92:93]
	v_add_f64 v[94:95], v[100:101], -v[94:95]
	;; [unrolled: 1-line block ×4, first 2 shown]
	v_add_f64 v[40:41], v[44:45], v[36:37]
	v_add_f64 v[42:43], v[44:45], -v[36:37]
	v_add_f64 v[118:119], v[36:37], -v[88:89]
	v_add_f64 v[36:37], v[46:47], v[38:39]
	v_add_f64 v[128:129], v[38:39], -v[90:91]
	v_add_f64 v[92:93], v[92:93], -v[100:101]
	;; [unrolled: 1-line block ×3, first 2 shown]
	v_fmac_f64_e32 v[138:139], s[16:17], v[130:131]
	v_add_f64 v[24:25], v[16:17], v[18:19]
	v_add_f64 v[26:27], v[30:31], -v[28:29]
	v_add_f64 v[16:17], v[18:19], -v[16:17]
	v_add_f64 v[18:19], v[28:29], v[30:31]
	v_fmac_f64_e32 v[134:135], s[16:17], v[130:131]
	v_add_f64 v[30:31], v[22:23], -v[132:133]
	v_add_f64 v[22:23], v[132:133], v[22:23]
	v_fmac_f64_e32 v[50:51], s[0:1], v[126:127]
	v_add_f64 v[126:127], v[46:47], -v[38:39]
	v_add_f64 v[130:131], v[40:41], v[88:89]
	v_add_f64 v[132:133], v[36:37], v[90:91]
	v_mul_f64 v[36:37], v[94:95], s[2:3]
	v_mul_f64 v[38:39], v[102:103], s[2:3]
	v_add_f64 v[88:89], v[88:89], -v[44:45]
	v_add_f64 v[90:91], v[90:91], -v[46:47]
	v_mul_f64 v[92:93], v[92:93], s[24:25]
	v_mul_f64 v[100:101], v[100:101], s[24:25]
	;; [unrolled: 1-line block ×4, first 2 shown]
	v_add_f64 v[28:29], v[134:135], v[20:21]
	v_add_f64 v[20:21], v[20:21], -v[134:135]
	v_mul_f64 v[134:135], v[42:43], s[14:15]
	v_mul_f64 v[126:127], v[126:127], s[14:15]
	v_fma_f64 v[36:37], v[52:53], s[12:13], -v[36:37]
	v_fma_f64 v[38:39], v[54:55], s[12:13], -v[38:39]
	;; [unrolled: 1-line block ×6, first 2 shown]
	v_fmac_f64_e32 v[92:93], s[2:3], v[94:95]
	v_add_f64 v[8:9], v[12:13], -v[138:139]
	v_add_f64 v[10:11], v[136:137], v[14:15]
	v_add_f64 v[12:13], v[138:139], v[12:13]
	v_add_f64 v[14:15], v[14:15], -v[136:137]
	v_add_f64 v[40:41], v[36:37], v[48:49]
	v_fma_f64 v[136:137], v[118:119], s[8:9], -v[134:135]
	v_fma_f64 v[138:139], v[128:129], s[8:9], -v[126:127]
	v_add_f64 v[46:47], v[52:53], v[48:49]
	v_add_f64 v[118:119], v[54:55], v[50:51]
	v_fmac_f64_e32 v[116:117], s[16:17], v[130:131]
	v_fmac_f64_e32 v[44:45], s[16:17], v[132:133]
	;; [unrolled: 1-line block ×4, first 2 shown]
	v_add_f64 v[48:49], v[92:93], v[48:49]
	v_add_f64 v[92:93], v[56:57], v[80:81]
	;; [unrolled: 1-line block ×5, first 2 shown]
	v_add_f64 v[54:55], v[118:119], -v[116:117]
	v_add_f64 v[44:45], v[46:47], -v[44:45]
	v_add_f64 v[46:47], v[116:117], v[118:119]
	v_add_f64 v[50:51], v[100:101], v[50:51]
	v_fmac_f64_e32 v[126:127], s[16:17], v[132:133]
	v_add_f64 v[100:101], v[64:65], v[68:69]
	v_add_f64 v[102:103], v[94:95], v[92:93]
	;; [unrolled: 1-line block ×4, first 2 shown]
	v_fmac_f64_e32 v[134:135], s[20:21], v[88:89]
	v_add_f64 v[88:89], v[126:127], v[48:49]
	v_add_f64 v[48:49], v[48:49], -v[126:127]
	v_add_f64 v[102:103], v[100:101], v[102:103]
	v_add_f64 v[124:125], v[66:67], v[70:71]
	v_add_f64 v[126:127], v[118:119], v[116:117]
	v_add_f64 v[126:127], v[124:125], v[126:127]
	v_add_f64 v[0:1], v[0:1], v[102:103]
	v_add_f64 v[60:61], v[60:61], -v[76:77]
	v_add_f64 v[76:77], v[68:69], -v[64:65]
	v_fmac_f64_e32 v[134:135], s[16:17], v[130:131]
	v_add_f64 v[2:3], v[2:3], v[126:127]
	v_add_f64 v[56:57], v[56:57], -v[80:81]
	v_add_f64 v[62:63], v[62:63], -v[78:79]
	;; [unrolled: 1-line block ×3, first 2 shown]
	v_mov_b64_e32 v[128:129], v[0:1]
	v_add_f64 v[80:81], v[118:119], -v[116:117]
	v_add_f64 v[118:119], v[124:125], -v[118:119]
	v_add_f64 v[64:65], v[76:77], v[60:61]
	v_add_f64 v[66:67], v[76:77], -v[60:61]
	v_fmac_f64_e32 v[136:137], s[16:17], v[130:131]
	v_add_f64 v[90:91], v[50:51], -v[134:135]
	v_add_f64 v[50:51], v[134:135], v[50:51]
	v_add_f64 v[58:59], v[58:59], -v[82:83]
	v_fmac_f64_e32 v[128:129], s[0:1], v[102:103]
	v_mov_b64_e32 v[102:103], v[2:3]
	v_add_f64 v[60:61], v[60:61], -v[56:57]
	v_add_f64 v[82:83], v[70:71], -v[62:63]
	v_add_f64 v[130:131], v[64:65], v[56:57]
	v_mul_f64 v[134:135], v[66:67], s[14:15]
	v_mul_f64 v[64:65], v[118:119], s[2:3]
	v_add_f64 v[38:39], v[136:137], v[42:43]
	v_add_f64 v[42:43], v[42:43], -v[136:137]
	v_fmac_f64_e32 v[102:103], s[0:1], v[126:127]
	v_add_f64 v[68:69], v[70:71], v[62:63]
	v_mul_f64 v[136:137], v[82:83], s[14:15]
	v_fma_f64 v[64:65], v[80:81], s[12:13], -v[64:65]
	v_fma_f64 v[82:83], v[60:61], s[8:9], -v[134:135]
	v_fmac_f64_e32 v[138:139], s[16:17], v[132:133]
	v_add_f64 v[132:133], v[68:69], v[58:59]
	v_add_f64 v[68:69], v[64:65], v[102:103]
	v_fmac_f64_e32 v[82:83], s[16:17], v[130:131]
	v_add_f64 v[78:79], v[94:95], -v[92:93]
	v_add_f64 v[94:95], v[100:101], -v[94:95]
	v_add_f64 v[126:127], v[62:63], -v[58:59]
	v_add_f64 v[64:65], v[82:83], v[68:69]
	v_add_f64 v[68:69], v[68:69], -v[82:83]
	v_add_f64 v[82:83], v[92:93], -v[100:101]
	;; [unrolled: 1-line block ×3, first 2 shown]
	v_mul_f64 v[62:63], v[94:95], s[2:3]
	v_add_f64 v[56:57], v[56:57], -v[76:77]
	v_add_f64 v[58:59], v[58:59], -v[70:71]
	v_mul_f64 v[70:71], v[82:83], s[24:25]
	v_mul_f64 v[92:93], v[92:93], s[24:25]
	;; [unrolled: 1-line block ×4, first 2 shown]
	v_add_f64 v[36:37], v[40:41], -v[138:139]
	v_add_f64 v[40:41], v[138:139], v[40:41]
	v_fma_f64 v[62:63], v[78:79], s[12:13], -v[62:63]
	v_fma_f64 v[138:139], v[126:127], s[8:9], -v[136:137]
	;; [unrolled: 1-line block ×6, first 2 shown]
	v_fmac_f64_e32 v[92:93], s[2:3], v[118:119]
	v_fmac_f64_e32 v[134:135], s[20:21], v[56:57]
	v_add_f64 v[66:67], v[62:63], v[128:129]
	v_fmac_f64_e32 v[138:139], s[16:17], v[132:133]
	v_add_f64 v[100:101], v[78:79], v[128:129]
	v_add_f64 v[116:117], v[80:81], v[102:103]
	v_fmac_f64_e32 v[60:61], s[16:17], v[130:131]
	v_fmac_f64_e32 v[82:83], s[16:17], v[132:133]
	v_fmac_f64_e32 v[70:71], s[2:3], v[94:95]
	v_fmac_f64_e32 v[136:137], s[20:21], v[58:59]
	v_add_f64 v[58:59], v[92:93], v[102:103]
	v_fmac_f64_e32 v[134:135], s[16:17], v[130:131]
	v_add_f64 v[62:63], v[66:67], -v[138:139]
	v_add_f64 v[66:67], v[138:139], v[66:67]
	v_add_f64 v[76:77], v[82:83], v[100:101]
	v_add_f64 v[78:79], v[116:117], -v[60:61]
	v_add_f64 v[80:81], v[100:101], -v[82:83]
	v_add_f64 v[82:83], v[60:61], v[116:117]
	v_add_f64 v[56:57], v[70:71], v[128:129]
	v_fmac_f64_e32 v[136:137], s[16:17], v[132:133]
	v_add_f64 v[102:103], v[134:135], v[58:59]
	v_add_f64 v[92:93], v[136:137], v[56:57]
	v_add_f64 v[94:95], v[58:59], -v[134:135]
	v_add_f64 v[100:101], v[56:57], -v[136:137]
	s_barrier
	ds_write_b128 v110, v[4:7]
	ds_write_b128 v110, v[28:31] offset:208
	ds_write_b128 v110, v[24:27] offset:416
	ds_write_b128 v110, v[8:11] offset:624
	ds_write_b128 v110, v[12:15] offset:832
	ds_write_b128 v110, v[16:19] offset:1040
	ds_write_b128 v110, v[20:23] offset:1248
	ds_write_b128 v111, v[32:35]
	ds_write_b128 v111, v[88:91] offset:208
	ds_write_b128 v111, v[52:55] offset:416
	ds_write_b128 v111, v[36:39] offset:624
	ds_write_b128 v111, v[40:43] offset:832
	ds_write_b128 v111, v[44:47] offset:1040
	ds_write_b128 v111, v[48:51] offset:1248
	;; [unrolled: 7-line block ×3, first 2 shown]
	s_waitcnt lgkmcnt(0)
	s_barrier
	ds_read_b128 v[8:11], v108
	ds_read_b128 v[4:7], v108 offset:1456
	ds_read_b128 v[12:15], v108 offset:8736
	;; [unrolled: 1-line block ×17, first 2 shown]
	s_waitcnt lgkmcnt(14)
	v_mul_f64 v[102:103], v[114:115], v[14:15]
	v_fmac_f64_e32 v[102:103], v[112:113], v[12:13]
	v_mul_f64 v[12:13], v[114:115], v[12:13]
	s_waitcnt lgkmcnt(9)
	v_mul_f64 v[70:71], v[122:123], v[38:39]
	v_fma_f64 v[116:117], v[112:113], v[14:15], -v[12:13]
	v_mul_f64 v[118:119], v[114:115], v[18:19]
	v_mul_f64 v[12:13], v[114:115], v[16:17]
	;; [unrolled: 1-line block ×3, first 2 shown]
	v_fmac_f64_e32 v[70:71], v[120:121], v[36:37]
	v_mul_f64 v[36:37], v[122:123], v[36:37]
	s_waitcnt lgkmcnt(7)
	v_mul_f64 v[94:95], v[122:123], v[42:43]
	v_fmac_f64_e32 v[114:115], v[72:73], v[20:21]
	v_mul_f64 v[20:21], v[74:75], v[20:21]
	v_fma_f64 v[92:93], v[120:121], v[38:39], -v[36:37]
	v_fmac_f64_e32 v[94:95], v[120:121], v[40:41]
	v_mul_f64 v[36:37], v[122:123], v[40:41]
	v_fma_f64 v[20:21], v[72:73], v[22:23], -v[20:21]
	s_waitcnt lgkmcnt(1)
	v_mul_f64 v[22:23], v[106:107], v[78:79]
	v_mul_f64 v[40:41], v[106:107], v[76:77]
	v_fmac_f64_e32 v[22:23], v[104:105], v[76:77]
	v_fma_f64 v[76:77], v[104:105], v[78:79], -v[40:41]
	v_mul_f64 v[78:79], v[98:99], v[30:31]
	v_fma_f64 v[100:101], v[120:121], v[42:43], -v[36:37]
	ds_read_b128 v[36:39], v108 offset:23296
	ds_read_b128 v[88:91], v108 offset:24752
	v_fmac_f64_e32 v[78:79], v[96:97], v[28:29]
	v_mul_f64 v[28:29], v[98:99], v[28:29]
	v_fma_f64 v[28:29], v[96:97], v[30:31], -v[28:29]
	v_mul_f64 v[120:121], v[86:87], v[64:65]
	v_mul_f64 v[30:31], v[86:87], v[62:63]
	v_fmac_f64_e32 v[120:121], v[84:85], v[62:63]
	v_fma_f64 v[62:63], v[84:85], v[64:65], -v[30:31]
	v_mul_f64 v[64:65], v[74:75], v[26:27]
	v_fmac_f64_e32 v[64:65], v[72:73], v[24:25]
	v_mul_f64 v[24:25], v[74:75], v[24:25]
	v_fmac_f64_e32 v[118:119], v[112:113], v[16:17]
	v_fma_f64 v[112:113], v[112:113], v[18:19], -v[12:13]
	v_mul_f64 v[16:17], v[86:87], v[50:51]
	v_mul_f64 v[18:19], v[86:87], v[48:49]
	v_fma_f64 v[72:73], v[72:73], v[26:27], -v[24:25]
	s_waitcnt lgkmcnt(1)
	v_mul_f64 v[24:25], v[106:107], v[36:37]
	v_mul_f64 v[86:87], v[98:99], v[34:35]
	v_fmac_f64_e32 v[16:17], v[84:85], v[48:49]
	v_fma_f64 v[18:19], v[84:85], v[50:51], -v[18:19]
	v_fma_f64 v[84:85], v[104:105], v[38:39], -v[24:25]
	v_fmac_f64_e32 v[86:87], v[96:97], v[32:33]
	v_mul_f64 v[24:25], v[98:99], v[32:33]
	v_accvgpr_read_b32 v30, a110
	v_mul_f64 v[74:75], v[106:107], v[38:39]
	v_accvgpr_read_b32 v32, a112
	v_accvgpr_read_b32 v33, a113
	v_fmac_f64_e32 v[74:75], v[104:105], v[36:37]
	v_fma_f64 v[96:97], v[96:97], v[34:35], -v[24:25]
	v_accvgpr_read_b32 v31, a111
	v_mul_f64 v[36:37], v[32:33], v[46:47]
	v_mul_f64 v[24:25], v[32:33], v[44:45]
	v_fmac_f64_e32 v[36:37], v[30:31], v[44:45]
	v_fma_f64 v[42:43], v[30:31], v[46:47], -v[24:25]
	v_accvgpr_read_b32 v30, a106
	v_accvgpr_read_b32 v32, a108
	v_accvgpr_read_b32 v33, a109
	v_accvgpr_read_b32 v31, a107
	v_mul_f64 v[38:39], v[32:33], v[54:55]
	v_mul_f64 v[24:25], v[32:33], v[52:53]
	v_fmac_f64_e32 v[38:39], v[30:31], v[52:53]
	v_fma_f64 v[44:45], v[30:31], v[54:55], -v[24:25]
	v_accvgpr_read_b32 v30, a102
	v_accvgpr_read_b32 v32, a104
	v_accvgpr_read_b32 v33, a105
	;; [unrolled: 8-line block ×3, first 2 shown]
	v_accvgpr_read_b32 v31, a99
	v_mul_f64 v[48:49], v[32:33], v[82:83]
	v_mul_f64 v[24:25], v[32:33], v[80:81]
	ds_read_b128 v[12:15], v108 offset:29120
	v_fmac_f64_e32 v[48:49], v[30:31], v[80:81]
	v_fma_f64 v[50:51], v[30:31], v[82:83], -v[24:25]
	v_accvgpr_read_b32 v30, a150
	v_accvgpr_read_b32 v32, a152
	;; [unrolled: 1-line block ×4, first 2 shown]
	s_waitcnt lgkmcnt(1)
	v_mul_f64 v[82:83], v[32:33], v[90:91]
	v_mul_f64 v[24:25], v[32:33], v[88:89]
	v_fmac_f64_e32 v[82:83], v[30:31], v[88:89]
	v_fma_f64 v[88:89], v[30:31], v[90:91], -v[24:25]
	v_accvgpr_read_b32 v24, a146
	v_accvgpr_read_b32 v26, a148
	;; [unrolled: 1-line block ×4, first 2 shown]
	s_waitcnt lgkmcnt(0)
	v_mul_f64 v[90:91], v[26:27], v[14:15]
	v_fmac_f64_e32 v[90:91], v[24:25], v[12:13]
	v_mul_f64 v[12:13], v[26:27], v[12:13]
	v_fma_f64 v[98:99], v[24:25], v[14:15], -v[12:13]
	v_add_f64 v[12:13], v[70:71], v[78:79]
	v_add_f64 v[14:15], v[92:93], v[28:29]
	v_add_f64 v[26:27], v[92:93], -v[28:29]
	v_add_f64 v[28:29], v[102:103], v[22:23]
	v_add_f64 v[30:31], v[116:117], v[76:77]
	;; [unrolled: 1-line block ×4, first 2 shown]
	v_add_f64 v[18:19], v[20:21], -v[18:19]
	v_add_f64 v[20:21], v[28:29], v[12:13]
	v_add_f64 v[54:55], v[30:31], v[14:15]
	;; [unrolled: 1-line block ×3, first 2 shown]
	v_add_f64 v[22:23], v[102:103], -v[22:23]
	v_add_f64 v[32:33], v[116:117], -v[76:77]
	;; [unrolled: 1-line block ×6, first 2 shown]
	v_add_f64 v[34:35], v[52:53], v[54:55]
	v_add_f64 v[8:9], v[8:9], v[20:21]
	v_add_f64 v[24:25], v[70:71], -v[78:79]
	v_add_f64 v[68:69], v[30:31], -v[14:15]
	;; [unrolled: 1-line block ×4, first 2 shown]
	v_add_f64 v[70:71], v[16:17], v[22:23]
	v_add_f64 v[76:77], v[18:19], v[32:33]
	v_add_f64 v[78:79], v[16:17], -v[22:23]
	v_add_f64 v[80:81], v[18:19], -v[32:33]
	v_add_f64 v[10:11], v[10:11], v[34:35]
	v_mov_b64_e32 v[92:93], v[8:9]
	v_add_f64 v[16:17], v[24:25], -v[16:17]
	v_add_f64 v[18:19], v[26:27], -v[18:19]
	;; [unrolled: 1-line block ×4, first 2 shown]
	v_add_f64 v[24:25], v[70:71], v[24:25]
	v_add_f64 v[26:27], v[76:77], v[26:27]
	v_mul_f64 v[12:13], v[12:13], s[24:25]
	v_mul_f64 v[14:15], v[14:15], s[24:25]
	;; [unrolled: 1-line block ×6, first 2 shown]
	v_fmac_f64_e32 v[92:93], s[0:1], v[20:21]
	v_mov_b64_e32 v[20:21], v[10:11]
	v_mul_f64 v[78:79], v[22:23], s[8:9]
	v_mul_f64 v[80:81], v[32:33], s[8:9]
	v_fmac_f64_e32 v[20:21], s[0:1], v[34:35]
	v_fma_f64 v[34:35], v[66:67], s[12:13], -v[52:53]
	v_fma_f64 v[52:53], v[68:69], s[12:13], -v[54:55]
	;; [unrolled: 1-line block ×3, first 2 shown]
	v_fmac_f64_e32 v[12:13], s[2:3], v[28:29]
	v_fma_f64 v[28:29], v[68:69], s[22:23], -v[14:15]
	v_fmac_f64_e32 v[14:15], s[2:3], v[30:31]
	v_fma_f64 v[30:31], v[22:23], s[8:9], -v[70:71]
	;; [unrolled: 2-line block ×4, first 2 shown]
	v_fma_f64 v[68:69], v[18:19], s[18:19], -v[80:81]
	v_add_f64 v[80:81], v[14:15], v[20:21]
	v_add_f64 v[34:35], v[34:35], v[92:93]
	;; [unrolled: 1-line block ×3, first 2 shown]
	v_fmac_f64_e32 v[70:71], s[16:17], v[24:25]
	v_fmac_f64_e32 v[30:31], s[16:17], v[24:25]
	;; [unrolled: 1-line block ×3, first 2 shown]
	v_add_f64 v[78:79], v[12:13], v[92:93]
	v_add_f64 v[54:55], v[54:55], v[92:93]
	;; [unrolled: 1-line block ×3, first 2 shown]
	v_fmac_f64_e32 v[76:77], s[16:17], v[26:27]
	v_fmac_f64_e32 v[66:67], s[16:17], v[24:25]
	;; [unrolled: 1-line block ×3, first 2 shown]
	v_add_f64 v[14:15], v[80:81], -v[70:71]
	v_add_f64 v[20:21], v[34:35], -v[32:33]
	v_add_f64 v[22:23], v[30:31], v[52:53]
	v_add_f64 v[24:25], v[32:33], v[34:35]
	v_add_f64 v[26:27], v[52:53], -v[30:31]
	v_add_f64 v[34:35], v[70:71], v[80:81]
	v_add_f64 v[52:53], v[94:95], v[86:87]
	v_add_f64 v[70:71], v[118:119], v[74:75]
	v_add_f64 v[12:13], v[76:77], v[78:79]
	v_add_f64 v[16:17], v[68:69], v[54:55]
	v_add_f64 v[28:29], v[54:55], -v[68:69]
	v_add_f64 v[32:33], v[78:79], -v[76:77]
	v_add_f64 v[54:55], v[100:101], v[96:97]
	v_add_f64 v[76:77], v[112:113], v[84:85]
	v_add_f64 v[78:79], v[112:113], -v[84:85]
	v_add_f64 v[80:81], v[120:121], v[64:65]
	v_add_f64 v[84:85], v[62:63], v[72:73]
	v_add_f64 v[62:63], v[72:73], -v[62:63]
	v_add_f64 v[72:73], v[70:71], v[52:53]
	v_add_f64 v[18:19], v[92:93], -v[66:67]
	;; [unrolled: 2-line block ×3, first 2 shown]
	v_add_f64 v[86:87], v[76:77], v[54:55]
	v_add_f64 v[72:73], v[80:81], v[72:73]
	v_add_f64 v[74:75], v[118:119], -v[74:75]
	v_add_f64 v[64:65], v[64:65], -v[120:121]
	;; [unrolled: 1-line block ×5, first 2 shown]
	v_add_f64 v[80:81], v[84:85], v[86:87]
	v_add_f64 v[4:5], v[4:5], v[72:73]
	v_add_f64 v[68:69], v[100:101], -v[96:97]
	v_add_f64 v[94:95], v[76:77], -v[54:55]
	;; [unrolled: 1-line block ×3, first 2 shown]
	v_add_f64 v[96:97], v[64:65], v[74:75]
	v_add_f64 v[102:103], v[64:65], -v[74:75]
	v_add_f64 v[6:7], v[6:7], v[80:81]
	v_mov_b64_e32 v[106:107], v[4:5]
	v_add_f64 v[54:55], v[54:55], -v[84:85]
	v_add_f64 v[100:101], v[62:63], v[78:79]
	v_add_f64 v[104:105], v[62:63], -v[78:79]
	v_add_f64 v[64:65], v[66:67], -v[64:65]
	;; [unrolled: 1-line block ×4, first 2 shown]
	v_add_f64 v[66:67], v[96:97], v[66:67]
	v_mul_f64 v[84:85], v[70:71], s[2:3]
	v_mul_f64 v[86:87], v[76:77], s[2:3]
	;; [unrolled: 1-line block ×3, first 2 shown]
	v_fmac_f64_e32 v[106:107], s[0:1], v[72:73]
	v_mov_b64_e32 v[72:73], v[6:7]
	v_add_f64 v[62:63], v[68:69], -v[62:63]
	v_add_f64 v[68:69], v[100:101], v[68:69]
	v_mul_f64 v[52:53], v[52:53], s[24:25]
	v_mul_f64 v[54:55], v[54:55], s[24:25]
	v_mul_f64 v[100:101], v[104:105], s[14:15]
	v_mul_f64 v[102:103], v[74:75], s[8:9]
	v_mul_f64 v[104:105], v[78:79], s[8:9]
	v_fmac_f64_e32 v[72:73], s[0:1], v[80:81]
	v_fma_f64 v[80:81], v[92:93], s[12:13], -v[84:85]
	v_fma_f64 v[84:85], v[94:95], s[12:13], -v[86:87]
	;; [unrolled: 1-line block ×4, first 2 shown]
	v_fmac_f64_e32 v[52:53], s[2:3], v[70:71]
	v_fma_f64 v[70:71], v[94:95], s[22:23], -v[54:55]
	v_fmac_f64_e32 v[54:55], s[2:3], v[76:77]
	v_fma_f64 v[76:77], v[78:79], s[8:9], -v[100:101]
	v_fmac_f64_e32 v[100:101], s[20:21], v[62:63]
	v_fma_f64 v[92:93], v[62:63], s[18:19], -v[104:105]
	v_add_f64 v[84:85], v[84:85], v[72:73]
	v_fmac_f64_e32 v[74:75], s[16:17], v[66:67]
	v_fma_f64 v[78:79], v[64:65], s[18:19], -v[102:103]
	v_add_f64 v[102:103], v[54:55], v[72:73]
	v_add_f64 v[86:87], v[86:87], v[106:107]
	;; [unrolled: 1-line block ×3, first 2 shown]
	v_fmac_f64_e32 v[100:101], s[16:17], v[68:69]
	v_fmac_f64_e32 v[76:77], s[16:17], v[68:69]
	;; [unrolled: 1-line block ×3, first 2 shown]
	v_add_f64 v[68:69], v[74:75], v[84:85]
	v_add_f64 v[72:73], v[84:85], -v[74:75]
	v_add_f64 v[84:85], v[36:37], v[90:91]
	v_add_f64 v[36:37], v[36:37], -v[90:91]
	v_add_f64 v[90:91], v[38:39], v[82:83]
	v_add_f64 v[62:63], v[92:93], v[86:87]
	v_add_f64 v[74:75], v[86:87], -v[92:93]
	v_add_f64 v[86:87], v[42:43], v[98:99]
	;; [unrolled: 3-line block ×3, first 2 shown]
	v_add_f64 v[40:41], v[48:49], -v[40:41]
	v_add_f64 v[48:49], v[90:91], v[84:85]
	v_fmac_f64_e32 v[96:97], s[20:21], v[64:65]
	v_add_f64 v[44:45], v[44:45], -v[88:89]
	v_add_f64 v[88:89], v[46:47], v[50:51]
	v_add_f64 v[46:47], v[50:51], -v[46:47]
	v_add_f64 v[50:51], v[92:93], v[86:87]
	v_add_f64 v[48:49], v[82:83], v[48:49]
	;; [unrolled: 1-line block ×4, first 2 shown]
	v_fmac_f64_e32 v[96:97], s[16:17], v[66:67]
	v_fmac_f64_e32 v[78:79], s[16:17], v[66:67]
	v_add_f64 v[42:43], v[42:43], -v[98:99]
	v_add_f64 v[50:51], v[88:89], v[50:51]
	v_add_f64 v[0:1], v[0:1], v[48:49]
	;; [unrolled: 1-line block ×3, first 2 shown]
	v_add_f64 v[54:55], v[102:103], -v[96:97]
	v_add_f64 v[64:65], v[104:105], -v[78:79]
	;; [unrolled: 1-line block ×3, first 2 shown]
	v_add_f64 v[70:71], v[76:77], v[80:81]
	v_add_f64 v[76:77], v[78:79], v[104:105]
	v_add_f64 v[78:79], v[94:95], -v[100:101]
	v_add_f64 v[80:81], v[96:97], v[102:103]
	v_add_f64 v[94:95], v[90:91], -v[84:85]
	v_add_f64 v[96:97], v[92:93], -v[86:87]
	;; [unrolled: 1-line block ×6, first 2 shown]
	v_add_f64 v[98:99], v[40:41], v[38:39]
	v_add_f64 v[100:101], v[46:47], v[44:45]
	v_add_f64 v[102:103], v[40:41], -v[38:39]
	v_add_f64 v[104:105], v[46:47], -v[44:45]
	;; [unrolled: 1-line block ×4, first 2 shown]
	v_add_f64 v[2:3], v[2:3], v[50:51]
	v_mov_b64_e32 v[106:107], v[0:1]
	v_add_f64 v[40:41], v[36:37], -v[40:41]
	v_add_f64 v[46:47], v[42:43], -v[46:47]
	v_add_f64 v[36:37], v[98:99], v[36:37]
	v_add_f64 v[42:43], v[100:101], v[42:43]
	v_mul_f64 v[82:83], v[84:85], s[24:25]
	v_mul_f64 v[84:85], v[86:87], s[24:25]
	;; [unrolled: 1-line block ×8, first 2 shown]
	v_fmac_f64_e32 v[106:107], s[0:1], v[48:49]
	v_mov_b64_e32 v[48:49], v[2:3]
	v_fmac_f64_e32 v[48:49], s[0:1], v[50:51]
	v_fma_f64 v[50:51], s[2:3], v[90:91], v[82:83]
	v_fma_f64 v[86:87], v[94:95], s[12:13], -v[86:87]
	v_fma_f64 v[88:89], v[96:97], s[12:13], -v[88:89]
	;; [unrolled: 1-line block ×4, first 2 shown]
	v_fmac_f64_e32 v[84:85], s[2:3], v[92:93]
	v_fma_f64 v[92:93], s[20:21], v[40:41], v[98:99]
	v_fma_f64 v[94:95], v[38:39], s[8:9], -v[98:99]
	v_fma_f64 v[96:97], v[44:45], s[8:9], -v[100:101]
	v_fmac_f64_e32 v[100:101], s[20:21], v[46:47]
	v_fma_f64 v[98:99], v[40:41], s[18:19], -v[102:103]
	v_fma_f64 v[102:103], v[46:47], s[18:19], -v[104:105]
	v_add_f64 v[104:105], v[50:51], v[106:107]
	v_add_f64 v[112:113], v[84:85], v[48:49]
	;; [unrolled: 1-line block ×6, first 2 shown]
	v_fmac_f64_e32 v[92:93], s[16:17], v[36:37]
	v_fmac_f64_e32 v[100:101], s[16:17], v[42:43]
	;; [unrolled: 1-line block ×6, first 2 shown]
	v_add_f64 v[36:37], v[100:101], v[104:105]
	v_add_f64 v[38:39], v[112:113], -v[92:93]
	v_add_f64 v[40:41], v[102:103], v[82:83]
	v_add_f64 v[42:43], v[86:87], -v[98:99]
	v_add_f64 v[44:45], v[50:51], -v[96:97]
	v_add_f64 v[46:47], v[94:95], v[84:85]
	v_add_f64 v[48:49], v[96:97], v[50:51]
	v_add_f64 v[50:51], v[84:85], -v[94:95]
	v_add_f64 v[82:83], v[82:83], -v[102:103]
	v_add_f64 v[84:85], v[98:99], v[86:87]
	v_add_f64 v[86:87], v[104:105], -v[100:101]
	v_add_f64 v[88:89], v[92:93], v[112:113]
	s_barrier
	ds_write_b128 v108, v[8:11]
	ds_write_b128 v108, v[12:15] offset:1456
	ds_write_b128 v108, v[16:19] offset:2912
	;; [unrolled: 1-line block ×20, first 2 shown]
	s_waitcnt lgkmcnt(0)
	s_barrier
	ds_read_b128 v[0:3], v108
	ds_read_b128 v[4:7], v108 offset:1456
	ds_read_b128 v[28:31], v108 offset:20384
	ds_read_b128 v[32:35], v108 offset:21840
	ds_read_b128 v[36:39], v108 offset:11648
	ds_read_b128 v[40:43], v108 offset:13104
	ds_read_b128 v[8:11], v108 offset:2912
	ds_read_b128 v[12:15], v108 offset:4368
	ds_read_b128 v[44:47], v108 offset:23296
	ds_read_b128 v[48:51], v108 offset:24752
	ds_read_b128 v[52:55], v108 offset:14560
	ds_read_b128 v[62:65], v108 offset:16016
	ds_read_b128 v[16:19], v108 offset:5824
	ds_read_b128 v[20:23], v108 offset:7280
	ds_read_b128 v[66:69], v108 offset:26208
	ds_read_b128 v[70:73], v108 offset:27664
	ds_read_b128 v[74:77], v108 offset:10192
	ds_read_b128 v[24:27], v108 offset:8736
	ds_read_b128 v[78:81], v108 offset:17472
	ds_read_b128 v[82:85], v108 offset:18928
	ds_read_b128 v[86:89], v108 offset:29120
	s_waitcnt lgkmcnt(4)
	v_mul_f64 v[90:91], v[194:195], v[76:77]
	v_fmac_f64_e32 v[90:91], v[192:193], v[74:75]
	v_mul_f64 v[74:75], v[194:195], v[74:75]
	v_fma_f64 v[74:75], v[192:193], v[76:77], -v[74:75]
	v_mul_f64 v[76:77], v[198:199], v[30:31]
	v_fmac_f64_e32 v[76:77], v[196:197], v[28:29]
	v_mul_f64 v[28:29], v[198:199], v[28:29]
	v_fma_f64 v[92:93], v[196:197], v[30:31], -v[28:29]
	v_mul_f64 v[28:29], v[202:203], v[36:37]
	v_fma_f64 v[96:97], v[200:201], v[38:39], -v[28:29]
	;; [unrolled: 2-line block ×9, first 2 shown]
	s_waitcnt lgkmcnt(2)
	v_mul_f64 v[28:29], v[234:235], v[78:79]
	v_mul_f64 v[130:131], v[234:235], v[80:81]
	v_fma_f64 v[80:81], v[232:233], v[80:81], -v[28:29]
	v_mul_f64 v[28:29], v[238:239], v[70:71]
	v_fma_f64 v[134:135], v[236:237], v[72:73], -v[28:29]
	s_waitcnt lgkmcnt(1)
	v_mul_f64 v[28:29], v[242:243], v[82:83]
	v_mul_f64 v[94:95], v[202:203], v[38:39]
	;; [unrolled: 1-line block ×3, first 2 shown]
	v_fma_f64 v[138:139], v[240:241], v[84:85], -v[28:29]
	s_waitcnt lgkmcnt(0)
	v_mul_f64 v[28:29], v[246:247], v[86:87]
	v_add_f64 v[30:31], v[90:91], v[76:77]
	s_mov_b32 s0, 0xe8584caa
	v_fmac_f64_e32 v[94:95], v[200:201], v[36:37]
	v_fmac_f64_e32 v[98:99], v[204:205], v[32:33]
	v_mul_f64 v[140:141], v[246:247], v[88:89]
	v_fma_f64 v[88:89], v[244:245], v[88:89], -v[28:29]
	v_add_f64 v[28:29], v[0:1], v[90:91]
	v_fmac_f64_e32 v[0:1], -0.5, v[30:31]
	v_add_f64 v[30:31], v[74:75], -v[92:93]
	s_mov_b32 s1, 0xbfebb67a
	s_mov_b32 s3, 0x3febb67a
	;; [unrolled: 1-line block ×3, first 2 shown]
	v_add_f64 v[34:35], v[74:75], v[92:93]
	v_mul_f64 v[102:103], v[210:211], v[42:43]
	v_mul_f64 v[106:107], v[214:215], v[46:47]
	v_fma_f64 v[32:33], s[0:1], v[30:31], v[0:1]
	v_fmac_f64_e32 v[0:1], s[2:3], v[30:31]
	v_add_f64 v[30:31], v[2:3], v[74:75]
	v_fmac_f64_e32 v[2:3], -0.5, v[34:35]
	v_add_f64 v[36:37], v[90:91], -v[76:77]
	v_add_f64 v[38:39], v[94:95], v[98:99]
	v_fmac_f64_e32 v[102:103], v[208:209], v[40:41]
	v_fmac_f64_e32 v[106:107], v[212:213], v[44:45]
	v_fma_f64 v[34:35], s[2:3], v[36:37], v[2:3]
	v_fmac_f64_e32 v[2:3], s[0:1], v[36:37]
	v_add_f64 v[36:37], v[4:5], v[94:95]
	v_fmac_f64_e32 v[4:5], -0.5, v[38:39]
	v_add_f64 v[38:39], v[96:97], -v[100:101]
	v_add_f64 v[42:43], v[96:97], v[100:101]
	v_mul_f64 v[114:115], v[218:219], v[54:55]
	v_mul_f64 v[118:119], v[222:223], v[50:51]
	v_fma_f64 v[40:41], s[0:1], v[38:39], v[4:5]
	v_fmac_f64_e32 v[4:5], s[2:3], v[38:39]
	v_add_f64 v[38:39], v[6:7], v[96:97]
	v_fmac_f64_e32 v[6:7], -0.5, v[42:43]
	v_add_f64 v[44:45], v[94:95], -v[98:99]
	v_add_f64 v[46:47], v[102:103], v[106:107]
	v_fmac_f64_e32 v[114:115], v[216:217], v[52:53]
	v_fmac_f64_e32 v[118:119], v[220:221], v[48:49]
	v_fma_f64 v[42:43], s[2:3], v[44:45], v[6:7]
	v_fmac_f64_e32 v[6:7], s[0:1], v[44:45]
	v_add_f64 v[44:45], v[8:9], v[102:103]
	v_fmac_f64_e32 v[8:9], -0.5, v[46:47]
	v_add_f64 v[46:47], v[104:105], -v[112:113]
	;; [unrolled: 16-line block ×3, first 2 shown]
	v_add_f64 v[64:65], v[116:117], v[120:121]
	v_mul_f64 v[132:133], v[238:239], v[72:73]
	v_fma_f64 v[62:63], s[0:1], v[54:55], v[12:13]
	v_fmac_f64_e32 v[12:13], s[2:3], v[54:55]
	v_add_f64 v[54:55], v[14:15], v[116:117]
	v_fmac_f64_e32 v[14:15], -0.5, v[64:65]
	v_add_f64 v[66:67], v[114:115], -v[118:119]
	v_add_f64 v[68:69], v[122:123], v[126:127]
	v_fmac_f64_e32 v[130:131], v[232:233], v[78:79]
	v_fmac_f64_e32 v[132:133], v[236:237], v[70:71]
	v_fma_f64 v[64:65], s[2:3], v[66:67], v[14:15]
	v_fmac_f64_e32 v[14:15], s[0:1], v[66:67]
	v_add_f64 v[66:67], v[16:17], v[122:123]
	v_fmac_f64_e32 v[16:17], -0.5, v[68:69]
	v_add_f64 v[68:69], v[124:125], -v[128:129]
	v_add_f64 v[72:73], v[124:125], v[128:129]
	v_add_f64 v[28:29], v[28:29], v[76:77]
	v_fma_f64 v[70:71], s[0:1], v[68:69], v[16:17]
	v_fmac_f64_e32 v[16:17], s[2:3], v[68:69]
	v_add_f64 v[68:69], v[18:19], v[124:125]
	v_fmac_f64_e32 v[18:19], -0.5, v[72:73]
	v_add_f64 v[74:75], v[122:123], -v[126:127]
	v_add_f64 v[76:77], v[130:131], v[132:133]
	v_mul_f64 v[136:137], v[242:243], v[84:85]
	v_fma_f64 v[72:73], s[2:3], v[74:75], v[18:19]
	v_fmac_f64_e32 v[18:19], s[0:1], v[74:75]
	v_add_f64 v[74:75], v[20:21], v[130:131]
	v_fmac_f64_e32 v[20:21], -0.5, v[76:77]
	v_add_f64 v[76:77], v[80:81], -v[134:135]
	v_fmac_f64_e32 v[136:137], v[240:241], v[82:83]
	v_fmac_f64_e32 v[140:141], v[244:245], v[86:87]
	v_fma_f64 v[78:79], s[0:1], v[76:77], v[20:21]
	v_fmac_f64_e32 v[20:21], s[2:3], v[76:77]
	v_add_f64 v[76:77], v[22:23], v[80:81]
	v_add_f64 v[80:81], v[80:81], v[134:135]
	v_fmac_f64_e32 v[22:23], -0.5, v[80:81]
	v_add_f64 v[82:83], v[130:131], -v[132:133]
	v_add_f64 v[84:85], v[136:137], v[140:141]
	v_fma_f64 v[80:81], s[2:3], v[82:83], v[22:23]
	v_fmac_f64_e32 v[22:23], s[0:1], v[82:83]
	v_add_f64 v[82:83], v[24:25], v[136:137]
	v_fmac_f64_e32 v[24:25], -0.5, v[84:85]
	v_add_f64 v[84:85], v[138:139], -v[88:89]
	v_fma_f64 v[86:87], s[0:1], v[84:85], v[24:25]
	v_fmac_f64_e32 v[24:25], s[2:3], v[84:85]
	v_add_f64 v[84:85], v[26:27], v[138:139]
	v_add_f64 v[84:85], v[84:85], v[88:89]
	;; [unrolled: 1-line block ×4, first 2 shown]
	v_fmac_f64_e32 v[26:27], -0.5, v[88:89]
	v_add_f64 v[90:91], v[136:137], -v[140:141]
	v_add_f64 v[36:37], v[36:37], v[98:99]
	v_add_f64 v[38:39], v[38:39], v[100:101]
	;; [unrolled: 1-line block ×11, first 2 shown]
	v_fma_f64 v[88:89], s[2:3], v[90:91], v[26:27]
	v_fmac_f64_e32 v[26:27], s[0:1], v[90:91]
	ds_write_b128 v108, v[28:31]
	ds_write_b128 v108, v[32:35] offset:10192
	ds_write_b128 v108, v[0:3] offset:20384
	;; [unrolled: 1-line block ×20, first 2 shown]
	s_waitcnt lgkmcnt(0)
	s_barrier
	ds_read_b128 v[0:3], v108
	v_accvgpr_read_b32 v142, a2
	v_mov_b32_e32 v56, s10
	v_mov_b32_e32 v57, s11
	v_mad_u64_u32 v[58:59], s[10:11], s6, v142, 0
	v_mov_b32_e32 v60, v59
	v_accvgpr_read_b32 v10, a32
	v_mad_u64_u32 v[4:5], s[0:1], s7, v142, v[60:61]
	v_accvgpr_read_b32 v12, a34
	v_accvgpr_read_b32 v13, a35
	v_mov_b32_e32 v59, v4
	ds_read_b128 v[4:7], v108 offset:2352
	v_accvgpr_read_b32 v11, a33
	s_waitcnt lgkmcnt(1)
	v_mul_f64 v[8:9], v[12:13], v[2:3]
	v_fmac_f64_e32 v[8:9], v[10:11], v[0:1]
	s_mov_b32 s0, 0xa36ec936
	v_mul_f64 v[0:1], v[12:13], v[0:1]
	s_mov_b32 s1, 0x3f4125a4
	v_fma_f64 v[0:1], v[10:11], v[2:3], -v[0:1]
	v_mul_f64 v[10:11], v[0:1], s[0:1]
	v_mad_u64_u32 v[0:1], s[2:3], s4, v190, 0
	v_mov_b32_e32 v2, v1
	v_mad_u64_u32 v[2:3], s[2:3], s5, v190, v[2:3]
	v_mov_b32_e32 v1, v2
	v_lshl_add_u64 v[2:3], v[58:59], 4, v[56:57]
	v_mul_f64 v[8:9], v[8:9], s[0:1]
	v_lshl_add_u64 v[12:13], v[0:1], 4, v[2:3]
	global_store_dwordx4 v[12:13], v[8:11], off
	s_mul_i32 s2, s5, 0x93
	s_mul_hi_u32 s3, s4, 0x93
	v_accvgpr_read_b32 v11, a7
	v_accvgpr_read_b32 v10, a6
	;; [unrolled: 1-line block ×4, first 2 shown]
	s_waitcnt lgkmcnt(0)
	v_mul_f64 v[0:1], v[10:11], v[6:7]
	v_mul_f64 v[2:3], v[10:11], v[4:5]
	v_fmac_f64_e32 v[0:1], v[8:9], v[4:5]
	v_fma_f64 v[2:3], v[8:9], v[6:7], -v[2:3]
	ds_read_b128 v[4:7], v108 offset:4704
	s_add_i32 s3, s3, s2
	s_mul_i32 s2, s4, 0x93
	s_lshl_b64 s[2:3], s[2:3], 4
	v_accvgpr_read_b32 v14, a24
	v_mul_f64 v[0:1], v[0:1], s[0:1]
	v_mul_f64 v[2:3], v[2:3], s[0:1]
	v_lshl_add_u64 v[12:13], v[12:13], 0, s[2:3]
	v_accvgpr_read_b32 v16, a26
	v_accvgpr_read_b32 v17, a27
	global_store_dwordx4 v[12:13], v[0:3], off
	ds_read_b128 v[0:3], v108 offset:7056
	v_accvgpr_read_b32 v15, a25
	s_waitcnt lgkmcnt(1)
	v_mul_f64 v[8:9], v[16:17], v[6:7]
	v_fmac_f64_e32 v[8:9], v[14:15], v[4:5]
	v_mul_f64 v[4:5], v[16:17], v[4:5]
	v_fma_f64 v[4:5], v[14:15], v[6:7], -v[4:5]
	v_mul_f64 v[8:9], v[8:9], s[0:1]
	v_mul_f64 v[10:11], v[4:5], s[0:1]
	v_lshl_add_u64 v[12:13], v[12:13], 0, s[2:3]
	global_store_dwordx4 v[12:13], v[8:11], off
	v_accvgpr_read_b32 v6, a12
	v_accvgpr_read_b32 v7, a13
	;; [unrolled: 1-line block ×4, first 2 shown]
	s_waitcnt lgkmcnt(0)
	v_mul_f64 v[4:5], v[8:9], v[2:3]
	v_fmac_f64_e32 v[4:5], v[6:7], v[0:1]
	v_mul_f64 v[0:1], v[8:9], v[0:1]
	v_fma_f64 v[6:7], v[6:7], v[2:3], -v[0:1]
	ds_read_b128 v[0:3], v108 offset:9408
	v_accvgpr_read_b32 v14, a40
	v_mul_f64 v[4:5], v[4:5], s[0:1]
	v_mul_f64 v[6:7], v[6:7], s[0:1]
	v_lshl_add_u64 v[12:13], v[12:13], 0, s[2:3]
	v_accvgpr_read_b32 v16, a42
	v_accvgpr_read_b32 v17, a43
	global_store_dwordx4 v[12:13], v[4:7], off
	ds_read_b128 v[4:7], v108 offset:11760
	v_accvgpr_read_b32 v15, a41
	s_waitcnt lgkmcnt(1)
	v_mul_f64 v[8:9], v[16:17], v[2:3]
	v_fmac_f64_e32 v[8:9], v[14:15], v[0:1]
	v_mul_f64 v[0:1], v[16:17], v[0:1]
	v_fma_f64 v[0:1], v[14:15], v[2:3], -v[0:1]
	v_mul_f64 v[8:9], v[8:9], s[0:1]
	v_mul_f64 v[10:11], v[0:1], s[0:1]
	v_lshl_add_u64 v[12:13], v[12:13], 0, s[2:3]
	global_store_dwordx4 v[12:13], v[8:11], off
	v_accvgpr_read_b32 v17, a11
	v_lshl_add_u64 v[12:13], v[12:13], 0, s[2:3]
	v_accvgpr_read_b32 v8, a16
	v_accvgpr_read_b32 v10, a18
	v_accvgpr_read_b32 v11, a19
	v_accvgpr_read_b32 v9, a17
	s_waitcnt lgkmcnt(0)
	v_mul_f64 v[0:1], v[10:11], v[6:7]
	v_mul_f64 v[2:3], v[10:11], v[4:5]
	v_fmac_f64_e32 v[0:1], v[8:9], v[4:5]
	v_fma_f64 v[2:3], v[8:9], v[6:7], -v[2:3]
	ds_read_b128 v[4:7], v108 offset:14112
	v_mul_f64 v[0:1], v[0:1], s[0:1]
	v_mul_f64 v[2:3], v[2:3], s[0:1]
	v_accvgpr_read_b32 v16, a10
	global_store_dwordx4 v[12:13], v[0:3], off
	ds_read_b128 v[0:3], v108 offset:16464
	v_accvgpr_read_b32 v15, a9
	v_accvgpr_read_b32 v14, a8
	s_waitcnt lgkmcnt(1)
	v_mul_f64 v[8:9], v[16:17], v[6:7]
	v_fmac_f64_e32 v[8:9], v[14:15], v[4:5]
	v_mul_f64 v[4:5], v[16:17], v[4:5]
	v_fma_f64 v[4:5], v[14:15], v[6:7], -v[4:5]
	v_mul_f64 v[8:9], v[8:9], s[0:1]
	v_mul_f64 v[10:11], v[4:5], s[0:1]
	v_lshl_add_u64 v[12:13], v[12:13], 0, s[2:3]
	global_store_dwordx4 v[12:13], v[8:11], off
	v_accvgpr_read_b32 v6, a48
	v_accvgpr_read_b32 v7, a49
	;; [unrolled: 1-line block ×4, first 2 shown]
	s_waitcnt lgkmcnt(0)
	v_mul_f64 v[4:5], v[8:9], v[2:3]
	v_fmac_f64_e32 v[4:5], v[6:7], v[0:1]
	v_mul_f64 v[0:1], v[8:9], v[0:1]
	v_fma_f64 v[6:7], v[6:7], v[2:3], -v[0:1]
	ds_read_b128 v[0:3], v108 offset:18816
	v_accvgpr_read_b32 v14, a20
	v_mul_f64 v[4:5], v[4:5], s[0:1]
	v_mul_f64 v[6:7], v[6:7], s[0:1]
	v_lshl_add_u64 v[12:13], v[12:13], 0, s[2:3]
	v_accvgpr_read_b32 v16, a22
	v_accvgpr_read_b32 v17, a23
	global_store_dwordx4 v[12:13], v[4:7], off
	ds_read_b128 v[4:7], v108 offset:21168
	v_accvgpr_read_b32 v15, a21
	s_waitcnt lgkmcnt(1)
	v_mul_f64 v[8:9], v[16:17], v[2:3]
	v_fmac_f64_e32 v[8:9], v[14:15], v[0:1]
	v_mul_f64 v[0:1], v[16:17], v[0:1]
	v_fma_f64 v[0:1], v[14:15], v[2:3], -v[0:1]
	v_mul_f64 v[8:9], v[8:9], s[0:1]
	v_mul_f64 v[10:11], v[0:1], s[0:1]
	v_lshl_add_u64 v[12:13], v[12:13], 0, s[2:3]
	global_store_dwordx4 v[12:13], v[8:11], off
	v_accvgpr_read_b32 v14, a28
	v_lshl_add_u64 v[12:13], v[12:13], 0, s[2:3]
	v_accvgpr_read_b32 v8, a52
	v_accvgpr_read_b32 v10, a54
	;; [unrolled: 1-line block ×4, first 2 shown]
	s_waitcnt lgkmcnt(0)
	v_mul_f64 v[0:1], v[10:11], v[6:7]
	v_mul_f64 v[2:3], v[10:11], v[4:5]
	v_fmac_f64_e32 v[0:1], v[8:9], v[4:5]
	v_fma_f64 v[2:3], v[8:9], v[6:7], -v[2:3]
	ds_read_b128 v[4:7], v108 offset:23520
	v_mul_f64 v[0:1], v[0:1], s[0:1]
	v_mul_f64 v[2:3], v[2:3], s[0:1]
	v_accvgpr_read_b32 v16, a30
	v_accvgpr_read_b32 v17, a31
	global_store_dwordx4 v[12:13], v[0:3], off
	ds_read_b128 v[0:3], v108 offset:25872
	v_accvgpr_read_b32 v15, a29
	s_waitcnt lgkmcnt(1)
	v_mul_f64 v[8:9], v[16:17], v[6:7]
	v_fmac_f64_e32 v[8:9], v[14:15], v[4:5]
	v_mul_f64 v[4:5], v[16:17], v[4:5]
	v_fma_f64 v[4:5], v[14:15], v[6:7], -v[4:5]
	v_mul_f64 v[8:9], v[8:9], s[0:1]
	v_mul_f64 v[10:11], v[4:5], s[0:1]
	v_lshl_add_u64 v[12:13], v[12:13], 0, s[2:3]
	global_store_dwordx4 v[12:13], v[8:11], off
	v_accvgpr_read_b32 v6, a36
	v_accvgpr_read_b32 v7, a37
	;; [unrolled: 1-line block ×4, first 2 shown]
	s_waitcnt lgkmcnt(0)
	v_mul_f64 v[4:5], v[8:9], v[2:3]
	v_fmac_f64_e32 v[4:5], v[6:7], v[0:1]
	v_mul_f64 v[0:1], v[8:9], v[0:1]
	ds_read_b128 v[8:11], v108 offset:28224
	v_fma_f64 v[0:1], v[6:7], v[2:3], -v[0:1]
	v_mul_f64 v[6:7], v[0:1], s[0:1]
	v_lshl_add_u64 v[0:1], v[12:13], 0, s[2:3]
	v_accvgpr_read_b32 v12, a44
	v_mul_f64 v[4:5], v[4:5], s[0:1]
	v_accvgpr_read_b32 v14, a46
	v_accvgpr_read_b32 v15, a47
	global_store_dwordx4 v[0:1], v[4:7], off
	v_accvgpr_read_b32 v13, a45
	s_waitcnt lgkmcnt(0)
	v_mul_f64 v[2:3], v[14:15], v[10:11]
	v_mul_f64 v[4:5], v[14:15], v[8:9]
	v_fmac_f64_e32 v[2:3], v[12:13], v[8:9]
	v_fma_f64 v[4:5], v[12:13], v[10:11], -v[4:5]
	v_mul_f64 v[2:3], v[2:3], s[0:1]
	v_mul_f64 v[4:5], v[4:5], s[0:1]
	v_lshl_add_u64 v[0:1], v[0:1], 0, s[2:3]
	global_store_dwordx4 v[0:1], v[2:5], off
	s_and_b64 exec, exec, vcc
	s_cbranch_execz .LBB0_15
; %bb.14:
	v_accvgpr_read_b32 v18, a76
	v_accvgpr_read_b32 v19, a77
	global_load_dwordx4 v[2:5], v[18:19], off offset:1456
	ds_read_b128 v[6:9], v108 offset:1456
	ds_read_b128 v[10:13], v108 offset:3808
	v_mov_b32_e32 v14, 0xffff9770
	s_mulk_i32 s5, 0x9770
	v_mad_u64_u32 v[14:15], s[6:7], s4, v14, v[0:1]
	s_sub_i32 s4, s5, s4
	v_add_u32_e32 v15, s4, v15
	s_movk_i32 s4, 0x1000
	s_waitcnt vmcnt(0) lgkmcnt(1)
	v_mul_f64 v[0:1], v[8:9], v[4:5]
	v_mul_f64 v[4:5], v[6:7], v[4:5]
	v_fmac_f64_e32 v[0:1], v[6:7], v[2:3]
	v_fma_f64 v[2:3], v[2:3], v[8:9], -v[4:5]
	v_mul_f64 v[0:1], v[0:1], s[0:1]
	v_mul_f64 v[2:3], v[2:3], s[0:1]
	global_store_dwordx4 v[14:15], v[0:3], off
	global_load_dwordx4 v[0:3], v[18:19], off offset:3808
	v_add_co_u32_e32 v4, vcc, s4, v18
	v_lshl_add_u64 v[14:15], v[14:15], 0, s[2:3]
	s_nop 0
	v_addc_co_u32_e32 v5, vcc, 0, v19, vcc
	s_movk_i32 s4, 0x2000
	s_waitcnt vmcnt(0) lgkmcnt(0)
	v_mul_f64 v[6:7], v[12:13], v[2:3]
	v_mul_f64 v[2:3], v[10:11], v[2:3]
	v_fmac_f64_e32 v[6:7], v[10:11], v[0:1]
	v_fma_f64 v[2:3], v[0:1], v[12:13], -v[2:3]
	v_mul_f64 v[0:1], v[6:7], s[0:1]
	v_mul_f64 v[2:3], v[2:3], s[0:1]
	global_store_dwordx4 v[14:15], v[0:3], off
	global_load_dwordx4 v[0:3], v[4:5], off offset:2064
	ds_read_b128 v[4:7], v108 offset:6160
	ds_read_b128 v[8:11], v108 offset:8512
	v_add_co_u32_e32 v12, vcc, s4, v18
	v_lshl_add_u64 v[14:15], v[14:15], 0, s[2:3]
	s_nop 0
	v_addc_co_u32_e32 v13, vcc, 0, v19, vcc
	s_movk_i32 s4, 0x3000
	s_waitcnt vmcnt(0) lgkmcnt(1)
	v_mul_f64 v[16:17], v[6:7], v[2:3]
	v_mul_f64 v[2:3], v[4:5], v[2:3]
	v_fmac_f64_e32 v[16:17], v[4:5], v[0:1]
	v_fma_f64 v[2:3], v[0:1], v[6:7], -v[2:3]
	v_mul_f64 v[0:1], v[16:17], s[0:1]
	v_mul_f64 v[2:3], v[2:3], s[0:1]
	global_store_dwordx4 v[14:15], v[0:3], off
	global_load_dwordx4 v[0:3], v[12:13], off offset:320
	v_lshl_add_u64 v[14:15], v[14:15], 0, s[2:3]
	s_waitcnt vmcnt(0) lgkmcnt(0)
	v_mul_f64 v[4:5], v[10:11], v[2:3]
	v_mul_f64 v[2:3], v[8:9], v[2:3]
	v_fmac_f64_e32 v[4:5], v[8:9], v[0:1]
	v_fma_f64 v[2:3], v[0:1], v[10:11], -v[2:3]
	v_mul_f64 v[0:1], v[4:5], s[0:1]
	v_mul_f64 v[2:3], v[2:3], s[0:1]
	global_store_dwordx4 v[14:15], v[0:3], off
	global_load_dwordx4 v[0:3], v[12:13], off offset:2672
	ds_read_b128 v[4:7], v108 offset:10864
	ds_read_b128 v[8:11], v108 offset:13216
	v_add_co_u32_e32 v12, vcc, s4, v18
	v_lshl_add_u64 v[14:15], v[14:15], 0, s[2:3]
	s_nop 0
	v_addc_co_u32_e32 v13, vcc, 0, v19, vcc
	s_movk_i32 s4, 0x4000
	s_waitcnt vmcnt(0) lgkmcnt(1)
	v_mul_f64 v[16:17], v[6:7], v[2:3]
	v_mul_f64 v[2:3], v[4:5], v[2:3]
	v_fmac_f64_e32 v[16:17], v[4:5], v[0:1]
	v_fma_f64 v[2:3], v[0:1], v[6:7], -v[2:3]
	v_mul_f64 v[0:1], v[16:17], s[0:1]
	v_mul_f64 v[2:3], v[2:3], s[0:1]
	global_store_dwordx4 v[14:15], v[0:3], off
	global_load_dwordx4 v[0:3], v[12:13], off offset:928
	v_lshl_add_u64 v[14:15], v[14:15], 0, s[2:3]
	;; [unrolled: 26-line block ×3, first 2 shown]
	s_waitcnt vmcnt(0) lgkmcnt(0)
	v_mul_f64 v[4:5], v[10:11], v[2:3]
	v_mul_f64 v[2:3], v[8:9], v[2:3]
	v_fmac_f64_e32 v[4:5], v[8:9], v[0:1]
	v_fma_f64 v[2:3], v[0:1], v[10:11], -v[2:3]
	v_mul_f64 v[0:1], v[4:5], s[0:1]
	v_mul_f64 v[2:3], v[2:3], s[0:1]
	global_store_dwordx4 v[14:15], v[0:3], off
	global_load_dwordx4 v[0:3], v[12:13], off offset:3888
	ds_read_b128 v[4:7], v108 offset:20272
	ds_read_b128 v[8:11], v108 offset:22624
	v_add_co_u32_e32 v12, vcc, s4, v18
	v_lshl_add_u64 v[14:15], v[14:15], 0, s[2:3]
	s_nop 0
	v_addc_co_u32_e32 v13, vcc, 0, v19, vcc
	s_movk_i32 s4, 0x6000
	s_waitcnt vmcnt(0) lgkmcnt(1)
	v_mul_f64 v[16:17], v[6:7], v[2:3]
	v_mul_f64 v[2:3], v[4:5], v[2:3]
	v_fmac_f64_e32 v[16:17], v[4:5], v[0:1]
	v_fma_f64 v[2:3], v[0:1], v[6:7], -v[2:3]
	v_mul_f64 v[0:1], v[16:17], s[0:1]
	v_mul_f64 v[2:3], v[2:3], s[0:1]
	global_store_dwordx4 v[14:15], v[0:3], off
	global_load_dwordx4 v[0:3], v[12:13], off offset:2144
	v_add_co_u32_e32 v12, vcc, s4, v18
	v_lshl_add_u64 v[14:15], v[14:15], 0, s[2:3]
	s_nop 0
	v_addc_co_u32_e32 v13, vcc, 0, v19, vcc
	s_movk_i32 s4, 0x7000
	s_waitcnt vmcnt(0) lgkmcnt(0)
	v_mul_f64 v[4:5], v[10:11], v[2:3]
	v_mul_f64 v[2:3], v[8:9], v[2:3]
	v_fmac_f64_e32 v[4:5], v[8:9], v[0:1]
	v_fma_f64 v[2:3], v[0:1], v[10:11], -v[2:3]
	v_mul_f64 v[0:1], v[4:5], s[0:1]
	v_mul_f64 v[2:3], v[2:3], s[0:1]
	global_store_dwordx4 v[14:15], v[0:3], off
	global_load_dwordx4 v[0:3], v[12:13], off offset:400
	ds_read_b128 v[4:7], v108 offset:24976
	ds_read_b128 v[8:11], v108 offset:27328
	v_lshl_add_u64 v[14:15], v[14:15], 0, s[2:3]
	s_waitcnt vmcnt(0) lgkmcnt(1)
	v_mul_f64 v[16:17], v[6:7], v[2:3]
	v_mul_f64 v[2:3], v[4:5], v[2:3]
	v_fmac_f64_e32 v[16:17], v[4:5], v[0:1]
	v_fma_f64 v[2:3], v[0:1], v[6:7], -v[2:3]
	v_mul_f64 v[0:1], v[16:17], s[0:1]
	v_mul_f64 v[2:3], v[2:3], s[0:1]
	global_store_dwordx4 v[14:15], v[0:3], off
	global_load_dwordx4 v[0:3], v[12:13], off offset:2752
	v_add_co_u32_e32 v4, vcc, s4, v18
	v_lshl_add_u64 v[12:13], v[14:15], 0, s[2:3]
	s_nop 0
	v_addc_co_u32_e32 v5, vcc, 0, v19, vcc
	s_waitcnt vmcnt(0) lgkmcnt(0)
	v_mul_f64 v[6:7], v[10:11], v[2:3]
	v_mul_f64 v[2:3], v[8:9], v[2:3]
	v_fmac_f64_e32 v[6:7], v[8:9], v[0:1]
	v_fma_f64 v[2:3], v[0:1], v[10:11], -v[2:3]
	v_mul_f64 v[0:1], v[6:7], s[0:1]
	v_mul_f64 v[2:3], v[2:3], s[0:1]
	global_store_dwordx4 v[12:13], v[0:3], off
	global_load_dwordx4 v[0:3], v[4:5], off offset:1008
	ds_read_b128 v[4:7], v108 offset:29680
	s_waitcnt vmcnt(0) lgkmcnt(0)
	v_mul_f64 v[8:9], v[6:7], v[2:3]
	v_mul_f64 v[2:3], v[4:5], v[2:3]
	v_fmac_f64_e32 v[8:9], v[4:5], v[0:1]
	v_fma_f64 v[2:3], v[0:1], v[6:7], -v[2:3]
	v_mul_f64 v[0:1], v[8:9], s[0:1]
	v_mul_f64 v[2:3], v[2:3], s[0:1]
	v_lshl_add_u64 v[4:5], v[12:13], 0, s[2:3]
	global_store_dwordx4 v[4:5], v[0:3], off
.LBB0_15:
	s_endpgm
	.section	.rodata,"a",@progbits
	.p2align	6, 0x0
	.amdhsa_kernel bluestein_single_back_len1911_dim1_dp_op_CI_CI
		.amdhsa_group_segment_fixed_size 30576
		.amdhsa_private_segment_fixed_size 0
		.amdhsa_kernarg_size 104
		.amdhsa_user_sgpr_count 2
		.amdhsa_user_sgpr_dispatch_ptr 0
		.amdhsa_user_sgpr_queue_ptr 0
		.amdhsa_user_sgpr_kernarg_segment_ptr 1
		.amdhsa_user_sgpr_dispatch_id 0
		.amdhsa_user_sgpr_kernarg_preload_length 0
		.amdhsa_user_sgpr_kernarg_preload_offset 0
		.amdhsa_user_sgpr_private_segment_size 0
		.amdhsa_uses_dynamic_stack 0
		.amdhsa_enable_private_segment 0
		.amdhsa_system_sgpr_workgroup_id_x 1
		.amdhsa_system_sgpr_workgroup_id_y 0
		.amdhsa_system_sgpr_workgroup_id_z 0
		.amdhsa_system_sgpr_workgroup_info 0
		.amdhsa_system_vgpr_workitem_id 0
		.amdhsa_next_free_vgpr 410
		.amdhsa_next_free_sgpr 50
		.amdhsa_accum_offset 256
		.amdhsa_reserve_vcc 1
		.amdhsa_float_round_mode_32 0
		.amdhsa_float_round_mode_16_64 0
		.amdhsa_float_denorm_mode_32 3
		.amdhsa_float_denorm_mode_16_64 3
		.amdhsa_dx10_clamp 1
		.amdhsa_ieee_mode 1
		.amdhsa_fp16_overflow 0
		.amdhsa_tg_split 0
		.amdhsa_exception_fp_ieee_invalid_op 0
		.amdhsa_exception_fp_denorm_src 0
		.amdhsa_exception_fp_ieee_div_zero 0
		.amdhsa_exception_fp_ieee_overflow 0
		.amdhsa_exception_fp_ieee_underflow 0
		.amdhsa_exception_fp_ieee_inexact 0
		.amdhsa_exception_int_div_zero 0
	.end_amdhsa_kernel
	.text
.Lfunc_end0:
	.size	bluestein_single_back_len1911_dim1_dp_op_CI_CI, .Lfunc_end0-bluestein_single_back_len1911_dim1_dp_op_CI_CI
                                        ; -- End function
	.section	.AMDGPU.csdata,"",@progbits
; Kernel info:
; codeLenInByte = 39020
; NumSgprs: 56
; NumVgprs: 256
; NumAgprs: 154
; TotalNumVgprs: 410
; ScratchSize: 0
; MemoryBound: 0
; FloatMode: 240
; IeeeMode: 1
; LDSByteSize: 30576 bytes/workgroup (compile time only)
; SGPRBlocks: 6
; VGPRBlocks: 51
; NumSGPRsForWavesPerEU: 56
; NumVGPRsForWavesPerEU: 410
; AccumOffset: 256
; Occupancy: 1
; WaveLimiterHint : 1
; COMPUTE_PGM_RSRC2:SCRATCH_EN: 0
; COMPUTE_PGM_RSRC2:USER_SGPR: 2
; COMPUTE_PGM_RSRC2:TRAP_HANDLER: 0
; COMPUTE_PGM_RSRC2:TGID_X_EN: 1
; COMPUTE_PGM_RSRC2:TGID_Y_EN: 0
; COMPUTE_PGM_RSRC2:TGID_Z_EN: 0
; COMPUTE_PGM_RSRC2:TIDIG_COMP_CNT: 0
; COMPUTE_PGM_RSRC3_GFX90A:ACCUM_OFFSET: 63
; COMPUTE_PGM_RSRC3_GFX90A:TG_SPLIT: 0
	.text
	.p2alignl 6, 3212836864
	.fill 256, 4, 3212836864
	.type	__hip_cuid_6937fcd791108f4f,@object ; @__hip_cuid_6937fcd791108f4f
	.section	.bss,"aw",@nobits
	.globl	__hip_cuid_6937fcd791108f4f
__hip_cuid_6937fcd791108f4f:
	.byte	0                               ; 0x0
	.size	__hip_cuid_6937fcd791108f4f, 1

	.ident	"AMD clang version 19.0.0git (https://github.com/RadeonOpenCompute/llvm-project roc-6.4.0 25133 c7fe45cf4b819c5991fe208aaa96edf142730f1d)"
	.section	".note.GNU-stack","",@progbits
	.addrsig
	.addrsig_sym __hip_cuid_6937fcd791108f4f
	.amdgpu_metadata
---
amdhsa.kernels:
  - .agpr_count:     154
    .args:
      - .actual_access:  read_only
        .address_space:  global
        .offset:         0
        .size:           8
        .value_kind:     global_buffer
      - .actual_access:  read_only
        .address_space:  global
        .offset:         8
        .size:           8
        .value_kind:     global_buffer
      - .actual_access:  read_only
        .address_space:  global
        .offset:         16
        .size:           8
        .value_kind:     global_buffer
      - .actual_access:  read_only
        .address_space:  global
        .offset:         24
        .size:           8
        .value_kind:     global_buffer
      - .actual_access:  read_only
        .address_space:  global
        .offset:         32
        .size:           8
        .value_kind:     global_buffer
      - .offset:         40
        .size:           8
        .value_kind:     by_value
      - .address_space:  global
        .offset:         48
        .size:           8
        .value_kind:     global_buffer
      - .address_space:  global
        .offset:         56
        .size:           8
        .value_kind:     global_buffer
      - .address_space:  global
        .offset:         64
        .size:           8
        .value_kind:     global_buffer
      - .address_space:  global
        .offset:         72
        .size:           8
        .value_kind:     global_buffer
      - .offset:         80
        .size:           4
        .value_kind:     by_value
      - .address_space:  global
        .offset:         88
        .size:           8
        .value_kind:     global_buffer
      - .address_space:  global
        .offset:         96
        .size:           8
        .value_kind:     global_buffer
    .group_segment_fixed_size: 30576
    .kernarg_segment_align: 8
    .kernarg_segment_size: 104
    .language:       OpenCL C
    .language_version:
      - 2
      - 0
    .max_flat_workgroup_size: 91
    .name:           bluestein_single_back_len1911_dim1_dp_op_CI_CI
    .private_segment_fixed_size: 0
    .sgpr_count:     56
    .sgpr_spill_count: 0
    .symbol:         bluestein_single_back_len1911_dim1_dp_op_CI_CI.kd
    .uniform_work_group_size: 1
    .uses_dynamic_stack: false
    .vgpr_count:     410
    .vgpr_spill_count: 0
    .wavefront_size: 64
amdhsa.target:   amdgcn-amd-amdhsa--gfx950
amdhsa.version:
  - 1
  - 2
...

	.end_amdgpu_metadata
